;; amdgpu-corpus repo=ROCm/rocFFT kind=compiled arch=gfx1100 opt=O3
	.text
	.amdgcn_target "amdgcn-amd-amdhsa--gfx1100"
	.amdhsa_code_object_version 6
	.protected	fft_rtc_back_len1575_factors_3_3_5_7_5_wgs_63_tpt_63_halfLds_dp_op_CI_CI_unitstride_sbrr_dirReg ; -- Begin function fft_rtc_back_len1575_factors_3_3_5_7_5_wgs_63_tpt_63_halfLds_dp_op_CI_CI_unitstride_sbrr_dirReg
	.globl	fft_rtc_back_len1575_factors_3_3_5_7_5_wgs_63_tpt_63_halfLds_dp_op_CI_CI_unitstride_sbrr_dirReg
	.p2align	8
	.type	fft_rtc_back_len1575_factors_3_3_5_7_5_wgs_63_tpt_63_halfLds_dp_op_CI_CI_unitstride_sbrr_dirReg,@function
fft_rtc_back_len1575_factors_3_3_5_7_5_wgs_63_tpt_63_halfLds_dp_op_CI_CI_unitstride_sbrr_dirReg: ; @fft_rtc_back_len1575_factors_3_3_5_7_5_wgs_63_tpt_63_halfLds_dp_op_CI_CI_unitstride_sbrr_dirReg
; %bb.0:
	s_clause 0x2
	s_load_b128 s[8:11], s[0:1], 0x0
	s_load_b128 s[4:7], s[0:1], 0x58
	;; [unrolled: 1-line block ×3, first 2 shown]
	v_mul_u32_u24_e32 v1, 0x411, v0
	v_mov_b32_e32 v3, 0
	s_delay_alu instid0(VALU_DEP_2) | instskip(NEXT) | instid1(VALU_DEP_1)
	v_lshrrev_b32_e32 v1, 16, v1
	v_add_nc_u32_e32 v5, s15, v1
	v_mov_b32_e32 v1, 0
	v_mov_b32_e32 v2, 0
	;; [unrolled: 1-line block ×3, first 2 shown]
	s_waitcnt lgkmcnt(0)
	v_cmp_lt_u64_e64 s2, s[10:11], 2
	s_delay_alu instid0(VALU_DEP_1)
	s_and_b32 vcc_lo, exec_lo, s2
	s_cbranch_vccnz .LBB0_8
; %bb.1:
	s_load_b64 s[2:3], s[0:1], 0x10
	v_mov_b32_e32 v1, 0
	v_mov_b32_e32 v2, 0
	s_add_u32 s12, s18, 8
	s_addc_u32 s13, s19, 0
	s_add_u32 s14, s16, 8
	s_addc_u32 s15, s17, 0
	v_dual_mov_b32 v151, v2 :: v_dual_mov_b32 v150, v1
	s_mov_b64 s[22:23], 1
	s_waitcnt lgkmcnt(0)
	s_add_u32 s20, s2, 8
	s_addc_u32 s21, s3, 0
.LBB0_2:                                ; =>This Inner Loop Header: Depth=1
	s_load_b64 s[24:25], s[20:21], 0x0
                                        ; implicit-def: $vgpr152_vgpr153
	s_mov_b32 s2, exec_lo
	s_waitcnt lgkmcnt(0)
	v_or_b32_e32 v4, s25, v6
	s_delay_alu instid0(VALU_DEP_1)
	v_cmpx_ne_u64_e32 0, v[3:4]
	s_xor_b32 s3, exec_lo, s2
	s_cbranch_execz .LBB0_4
; %bb.3:                                ;   in Loop: Header=BB0_2 Depth=1
	v_cvt_f32_u32_e32 v4, s24
	v_cvt_f32_u32_e32 v7, s25
	s_sub_u32 s2, 0, s24
	s_subb_u32 s26, 0, s25
	s_delay_alu instid0(VALU_DEP_1) | instskip(NEXT) | instid1(VALU_DEP_1)
	v_fmac_f32_e32 v4, 0x4f800000, v7
	v_rcp_f32_e32 v4, v4
	s_waitcnt_depctr 0xfff
	v_mul_f32_e32 v4, 0x5f7ffffc, v4
	s_delay_alu instid0(VALU_DEP_1) | instskip(NEXT) | instid1(VALU_DEP_1)
	v_mul_f32_e32 v7, 0x2f800000, v4
	v_trunc_f32_e32 v7, v7
	s_delay_alu instid0(VALU_DEP_1) | instskip(SKIP_1) | instid1(VALU_DEP_2)
	v_fmac_f32_e32 v4, 0xcf800000, v7
	v_cvt_u32_f32_e32 v7, v7
	v_cvt_u32_f32_e32 v4, v4
	s_delay_alu instid0(VALU_DEP_2) | instskip(NEXT) | instid1(VALU_DEP_2)
	v_mul_lo_u32 v8, s2, v7
	v_mul_hi_u32 v9, s2, v4
	v_mul_lo_u32 v10, s26, v4
	s_delay_alu instid0(VALU_DEP_2) | instskip(SKIP_1) | instid1(VALU_DEP_2)
	v_add_nc_u32_e32 v8, v9, v8
	v_mul_lo_u32 v9, s2, v4
	v_add_nc_u32_e32 v8, v8, v10
	s_delay_alu instid0(VALU_DEP_2) | instskip(NEXT) | instid1(VALU_DEP_2)
	v_mul_hi_u32 v10, v4, v9
	v_mul_lo_u32 v11, v4, v8
	v_mul_hi_u32 v12, v4, v8
	v_mul_hi_u32 v13, v7, v9
	v_mul_lo_u32 v9, v7, v9
	v_mul_hi_u32 v14, v7, v8
	v_mul_lo_u32 v8, v7, v8
	v_add_co_u32 v10, vcc_lo, v10, v11
	v_add_co_ci_u32_e32 v11, vcc_lo, 0, v12, vcc_lo
	s_delay_alu instid0(VALU_DEP_2) | instskip(NEXT) | instid1(VALU_DEP_2)
	v_add_co_u32 v9, vcc_lo, v10, v9
	v_add_co_ci_u32_e32 v9, vcc_lo, v11, v13, vcc_lo
	v_add_co_ci_u32_e32 v10, vcc_lo, 0, v14, vcc_lo
	s_delay_alu instid0(VALU_DEP_2) | instskip(NEXT) | instid1(VALU_DEP_2)
	v_add_co_u32 v8, vcc_lo, v9, v8
	v_add_co_ci_u32_e32 v9, vcc_lo, 0, v10, vcc_lo
	s_delay_alu instid0(VALU_DEP_2) | instskip(NEXT) | instid1(VALU_DEP_2)
	v_add_co_u32 v4, vcc_lo, v4, v8
	v_add_co_ci_u32_e32 v7, vcc_lo, v7, v9, vcc_lo
	s_delay_alu instid0(VALU_DEP_2) | instskip(SKIP_1) | instid1(VALU_DEP_3)
	v_mul_hi_u32 v8, s2, v4
	v_mul_lo_u32 v10, s26, v4
	v_mul_lo_u32 v9, s2, v7
	s_delay_alu instid0(VALU_DEP_1) | instskip(SKIP_1) | instid1(VALU_DEP_2)
	v_add_nc_u32_e32 v8, v8, v9
	v_mul_lo_u32 v9, s2, v4
	v_add_nc_u32_e32 v8, v8, v10
	s_delay_alu instid0(VALU_DEP_2) | instskip(NEXT) | instid1(VALU_DEP_2)
	v_mul_hi_u32 v10, v4, v9
	v_mul_lo_u32 v11, v4, v8
	v_mul_hi_u32 v12, v4, v8
	v_mul_hi_u32 v13, v7, v9
	v_mul_lo_u32 v9, v7, v9
	v_mul_hi_u32 v14, v7, v8
	v_mul_lo_u32 v8, v7, v8
	v_add_co_u32 v10, vcc_lo, v10, v11
	v_add_co_ci_u32_e32 v11, vcc_lo, 0, v12, vcc_lo
	s_delay_alu instid0(VALU_DEP_2) | instskip(NEXT) | instid1(VALU_DEP_2)
	v_add_co_u32 v9, vcc_lo, v10, v9
	v_add_co_ci_u32_e32 v9, vcc_lo, v11, v13, vcc_lo
	v_add_co_ci_u32_e32 v10, vcc_lo, 0, v14, vcc_lo
	s_delay_alu instid0(VALU_DEP_2) | instskip(NEXT) | instid1(VALU_DEP_2)
	v_add_co_u32 v8, vcc_lo, v9, v8
	v_add_co_ci_u32_e32 v9, vcc_lo, 0, v10, vcc_lo
	s_delay_alu instid0(VALU_DEP_2) | instskip(NEXT) | instid1(VALU_DEP_2)
	v_add_co_u32 v4, vcc_lo, v4, v8
	v_add_co_ci_u32_e32 v13, vcc_lo, v7, v9, vcc_lo
	s_delay_alu instid0(VALU_DEP_2) | instskip(SKIP_1) | instid1(VALU_DEP_3)
	v_mul_hi_u32 v14, v5, v4
	v_mad_u64_u32 v[9:10], null, v6, v4, 0
	v_mad_u64_u32 v[7:8], null, v5, v13, 0
	;; [unrolled: 1-line block ×3, first 2 shown]
	s_delay_alu instid0(VALU_DEP_2) | instskip(NEXT) | instid1(VALU_DEP_3)
	v_add_co_u32 v4, vcc_lo, v14, v7
	v_add_co_ci_u32_e32 v7, vcc_lo, 0, v8, vcc_lo
	s_delay_alu instid0(VALU_DEP_2) | instskip(NEXT) | instid1(VALU_DEP_2)
	v_add_co_u32 v4, vcc_lo, v4, v9
	v_add_co_ci_u32_e32 v4, vcc_lo, v7, v10, vcc_lo
	v_add_co_ci_u32_e32 v7, vcc_lo, 0, v12, vcc_lo
	s_delay_alu instid0(VALU_DEP_2) | instskip(NEXT) | instid1(VALU_DEP_2)
	v_add_co_u32 v4, vcc_lo, v4, v11
	v_add_co_ci_u32_e32 v9, vcc_lo, 0, v7, vcc_lo
	s_delay_alu instid0(VALU_DEP_2) | instskip(SKIP_1) | instid1(VALU_DEP_3)
	v_mul_lo_u32 v10, s25, v4
	v_mad_u64_u32 v[7:8], null, s24, v4, 0
	v_mul_lo_u32 v11, s24, v9
	s_delay_alu instid0(VALU_DEP_2) | instskip(NEXT) | instid1(VALU_DEP_2)
	v_sub_co_u32 v7, vcc_lo, v5, v7
	v_add3_u32 v8, v8, v11, v10
	s_delay_alu instid0(VALU_DEP_1) | instskip(NEXT) | instid1(VALU_DEP_1)
	v_sub_nc_u32_e32 v10, v6, v8
	v_subrev_co_ci_u32_e64 v10, s2, s25, v10, vcc_lo
	v_add_co_u32 v11, s2, v4, 2
	s_delay_alu instid0(VALU_DEP_1) | instskip(SKIP_3) | instid1(VALU_DEP_3)
	v_add_co_ci_u32_e64 v12, s2, 0, v9, s2
	v_sub_co_u32 v13, s2, v7, s24
	v_sub_co_ci_u32_e32 v8, vcc_lo, v6, v8, vcc_lo
	v_subrev_co_ci_u32_e64 v10, s2, 0, v10, s2
	v_cmp_le_u32_e32 vcc_lo, s24, v13
	s_delay_alu instid0(VALU_DEP_3) | instskip(SKIP_1) | instid1(VALU_DEP_4)
	v_cmp_eq_u32_e64 s2, s25, v8
	v_cndmask_b32_e64 v13, 0, -1, vcc_lo
	v_cmp_le_u32_e32 vcc_lo, s25, v10
	v_cndmask_b32_e64 v14, 0, -1, vcc_lo
	v_cmp_le_u32_e32 vcc_lo, s24, v7
	;; [unrolled: 2-line block ×3, first 2 shown]
	v_cndmask_b32_e64 v15, 0, -1, vcc_lo
	v_cmp_eq_u32_e32 vcc_lo, s25, v10
	s_delay_alu instid0(VALU_DEP_2) | instskip(SKIP_3) | instid1(VALU_DEP_3)
	v_cndmask_b32_e64 v7, v15, v7, s2
	v_cndmask_b32_e32 v10, v14, v13, vcc_lo
	v_add_co_u32 v13, vcc_lo, v4, 1
	v_add_co_ci_u32_e32 v14, vcc_lo, 0, v9, vcc_lo
	v_cmp_ne_u32_e32 vcc_lo, 0, v10
	s_delay_alu instid0(VALU_DEP_2) | instskip(NEXT) | instid1(VALU_DEP_4)
	v_cndmask_b32_e32 v8, v14, v12, vcc_lo
	v_cndmask_b32_e32 v10, v13, v11, vcc_lo
	v_cmp_ne_u32_e32 vcc_lo, 0, v7
	s_delay_alu instid0(VALU_DEP_2)
	v_dual_cndmask_b32 v153, v9, v8 :: v_dual_cndmask_b32 v152, v4, v10
.LBB0_4:                                ;   in Loop: Header=BB0_2 Depth=1
	s_and_not1_saveexec_b32 s2, s3
	s_cbranch_execz .LBB0_6
; %bb.5:                                ;   in Loop: Header=BB0_2 Depth=1
	v_cvt_f32_u32_e32 v4, s24
	s_sub_i32 s3, 0, s24
	v_mov_b32_e32 v153, v3
	s_delay_alu instid0(VALU_DEP_2) | instskip(SKIP_2) | instid1(VALU_DEP_1)
	v_rcp_iflag_f32_e32 v4, v4
	s_waitcnt_depctr 0xfff
	v_mul_f32_e32 v4, 0x4f7ffffe, v4
	v_cvt_u32_f32_e32 v4, v4
	s_delay_alu instid0(VALU_DEP_1) | instskip(NEXT) | instid1(VALU_DEP_1)
	v_mul_lo_u32 v7, s3, v4
	v_mul_hi_u32 v7, v4, v7
	s_delay_alu instid0(VALU_DEP_1) | instskip(NEXT) | instid1(VALU_DEP_1)
	v_add_nc_u32_e32 v4, v4, v7
	v_mul_hi_u32 v4, v5, v4
	s_delay_alu instid0(VALU_DEP_1) | instskip(SKIP_1) | instid1(VALU_DEP_2)
	v_mul_lo_u32 v7, v4, s24
	v_add_nc_u32_e32 v8, 1, v4
	v_sub_nc_u32_e32 v7, v5, v7
	s_delay_alu instid0(VALU_DEP_1) | instskip(SKIP_1) | instid1(VALU_DEP_2)
	v_subrev_nc_u32_e32 v9, s24, v7
	v_cmp_le_u32_e32 vcc_lo, s24, v7
	v_dual_cndmask_b32 v7, v7, v9 :: v_dual_cndmask_b32 v4, v4, v8
	s_delay_alu instid0(VALU_DEP_1) | instskip(NEXT) | instid1(VALU_DEP_2)
	v_cmp_le_u32_e32 vcc_lo, s24, v7
	v_add_nc_u32_e32 v8, 1, v4
	s_delay_alu instid0(VALU_DEP_1)
	v_cndmask_b32_e32 v152, v4, v8, vcc_lo
.LBB0_6:                                ;   in Loop: Header=BB0_2 Depth=1
	s_or_b32 exec_lo, exec_lo, s2
	s_delay_alu instid0(VALU_DEP_1) | instskip(NEXT) | instid1(VALU_DEP_2)
	v_mul_lo_u32 v4, v153, s24
	v_mul_lo_u32 v9, v152, s25
	s_load_b64 s[2:3], s[14:15], 0x0
	v_mad_u64_u32 v[7:8], null, v152, s24, 0
	s_load_b64 s[24:25], s[12:13], 0x0
	s_add_u32 s22, s22, 1
	s_addc_u32 s23, s23, 0
	s_add_u32 s12, s12, 8
	s_addc_u32 s13, s13, 0
	s_add_u32 s14, s14, 8
	s_delay_alu instid0(VALU_DEP_1) | instskip(SKIP_3) | instid1(VALU_DEP_2)
	v_add3_u32 v4, v8, v9, v4
	v_sub_co_u32 v8, vcc_lo, v5, v7
	s_addc_u32 s15, s15, 0
	s_add_u32 s20, s20, 8
	v_sub_co_ci_u32_e32 v6, vcc_lo, v6, v4, vcc_lo
	s_addc_u32 s21, s21, 0
	s_waitcnt lgkmcnt(0)
	s_delay_alu instid0(VALU_DEP_1)
	v_mul_lo_u32 v9, s2, v6
	v_mul_lo_u32 v10, s3, v8
	v_mad_u64_u32 v[4:5], null, s2, v8, v[1:2]
	v_mul_lo_u32 v11, s24, v6
	v_mul_lo_u32 v12, s25, v8
	v_mad_u64_u32 v[6:7], null, s24, v8, v[150:151]
	v_cmp_ge_u64_e64 s2, s[22:23], s[10:11]
	v_add3_u32 v2, v10, v5, v9
	s_delay_alu instid0(VALU_DEP_3) | instskip(NEXT) | instid1(VALU_DEP_4)
	v_dual_mov_b32 v1, v4 :: v_dual_mov_b32 v150, v6
	v_add3_u32 v151, v12, v7, v11
	s_delay_alu instid0(VALU_DEP_4)
	s_and_b32 vcc_lo, exec_lo, s2
	s_cbranch_vccnz .LBB0_9
; %bb.7:                                ;   in Loop: Header=BB0_2 Depth=1
	v_dual_mov_b32 v5, v152 :: v_dual_mov_b32 v6, v153
	s_branch .LBB0_2
.LBB0_8:
	v_dual_mov_b32 v151, v2 :: v_dual_mov_b32 v150, v1
	v_dual_mov_b32 v153, v6 :: v_dual_mov_b32 v152, v5
.LBB0_9:
	s_load_b64 s[0:1], s[0:1], 0x28
	v_mul_hi_u32 v3, 0x4104105, v0
	s_lshl_b64 s[10:11], s[10:11], 3
                                        ; implicit-def: $vgpr154
	s_delay_alu instid0(SALU_CYCLE_1) | instskip(SKIP_4) | instid1(VALU_DEP_1)
	s_add_u32 s2, s18, s10
	s_addc_u32 s3, s19, s11
	s_waitcnt lgkmcnt(0)
	v_cmp_gt_u64_e32 vcc_lo, s[0:1], v[152:153]
	v_cmp_le_u64_e64 s0, s[0:1], v[152:153]
	s_and_saveexec_b32 s1, s0
	s_delay_alu instid0(SALU_CYCLE_1)
	s_xor_b32 s0, exec_lo, s1
; %bb.10:
	v_mul_u32_u24_e32 v1, 63, v3
                                        ; implicit-def: $vgpr3
	s_delay_alu instid0(VALU_DEP_1)
	v_sub_nc_u32_e32 v154, v0, v1
                                        ; implicit-def: $vgpr0
                                        ; implicit-def: $vgpr1_vgpr2
; %bb.11:
	s_or_saveexec_b32 s1, s0
	s_load_b64 s[2:3], s[2:3], 0x0
                                        ; implicit-def: $vgpr114_vgpr115
                                        ; implicit-def: $vgpr140_vgpr141
                                        ; implicit-def: $vgpr136_vgpr137
                                        ; implicit-def: $vgpr84_vgpr85
                                        ; implicit-def: $vgpr88_vgpr89
                                        ; implicit-def: $vgpr96_vgpr97
                                        ; implicit-def: $vgpr56_vgpr57
                                        ; implicit-def: $vgpr80_vgpr81
                                        ; implicit-def: $vgpr100_vgpr101
                                        ; implicit-def: $vgpr52_vgpr53
                                        ; implicit-def: $vgpr64_vgpr65
                                        ; implicit-def: $vgpr92_vgpr93
                                        ; implicit-def: $vgpr76_vgpr77
                                        ; implicit-def: $vgpr48_vgpr49
                                        ; implicit-def: $vgpr106_vgpr107
                                        ; implicit-def: $vgpr32_vgpr33
                                        ; implicit-def: $vgpr60_vgpr61
                                        ; implicit-def: $vgpr28_vgpr29
                                        ; implicit-def: $vgpr36_vgpr37
                                        ; implicit-def: $vgpr68_vgpr69
                                        ; implicit-def: $vgpr24_vgpr25
                                        ; implicit-def: $vgpr40_vgpr41
                                        ; implicit-def: $vgpr72_vgpr73
                                        ; implicit-def: $vgpr20_vgpr21
                                        ; implicit-def: $vgpr44_vgpr45
                                        ; implicit-def: $vgpr144_vgpr145
                                        ; implicit-def: $vgpr16_vgpr17
	s_xor_b32 exec_lo, exec_lo, s1
	s_cbranch_execz .LBB0_15
; %bb.12:
	s_add_u32 s10, s16, s10
	s_addc_u32 s11, s17, s11
	v_lshlrev_b64 v[1:2], 4, v[1:2]
	s_load_b64 s[10:11], s[10:11], 0x0
                                        ; implicit-def: $vgpr134_vgpr135
                                        ; implicit-def: $vgpr138_vgpr139
                                        ; implicit-def: $vgpr112_vgpr113
	s_waitcnt lgkmcnt(0)
	v_mul_lo_u32 v6, s11, v152
	v_mul_lo_u32 v7, s10, v153
	v_mad_u64_u32 v[4:5], null, s10, v152, 0
	s_delay_alu instid0(VALU_DEP_1) | instskip(SKIP_1) | instid1(VALU_DEP_2)
	v_add3_u32 v5, v5, v7, v6
	v_mul_u32_u24_e32 v6, 63, v3
	v_lshlrev_b64 v[3:4], 4, v[4:5]
	s_delay_alu instid0(VALU_DEP_2) | instskip(NEXT) | instid1(VALU_DEP_2)
	v_sub_nc_u32_e32 v154, v0, v6
	v_add_co_u32 v0, s0, s4, v3
	s_delay_alu instid0(VALU_DEP_1) | instskip(NEXT) | instid1(VALU_DEP_3)
	v_add_co_ci_u32_e64 v3, s0, s5, v4, s0
	v_lshlrev_b32_e32 v4, 4, v154
	s_delay_alu instid0(VALU_DEP_3) | instskip(NEXT) | instid1(VALU_DEP_1)
	v_add_co_u32 v0, s0, v0, v1
	v_add_co_ci_u32_e64 v1, s0, v3, v2, s0
	s_mov_b32 s4, exec_lo
	s_delay_alu instid0(VALU_DEP_2) | instskip(NEXT) | instid1(VALU_DEP_1)
	v_add_co_u32 v0, s0, v0, v4
	v_add_co_ci_u32_e64 v1, s0, 0, v1, s0
	s_clause 0x3
	global_load_b128 v[14:17], v[0:1], off
	global_load_b128 v[18:21], v[0:1], off offset:1008
	global_load_b128 v[22:25], v[0:1], off offset:2016
	;; [unrolled: 1-line block ×3, first 2 shown]
	v_add_co_u32 v6, s0, 0x2000, v0
	s_delay_alu instid0(VALU_DEP_1) | instskip(SKIP_1) | instid1(VALU_DEP_1)
	v_add_co_ci_u32_e64 v7, s0, 0, v1, s0
	v_add_co_u32 v2, s0, 0x4000, v0
	v_add_co_ci_u32_e64 v3, s0, 0, v1, s0
	v_add_co_u32 v8, s0, 0x3000, v0
	s_delay_alu instid0(VALU_DEP_1) | instskip(SKIP_1) | instid1(VALU_DEP_1)
	v_add_co_ci_u32_e64 v9, s0, 0, v1, s0
	v_add_co_u32 v10, s0, 0x5000, v0
	v_add_co_ci_u32_e64 v11, s0, 0, v1, s0
	v_add_co_u32 v4, s0, 0x1000, v0
	s_delay_alu instid0(VALU_DEP_1)
	v_add_co_ci_u32_e64 v5, s0, 0, v1, s0
	s_clause 0x13
	global_load_b128 v[70:73], v[6:7], off offset:1216
	global_load_b128 v[66:69], v[6:7], off offset:2224
	;; [unrolled: 1-line block ×20, first 2 shown]
	v_cmpx_gt_u32_e32 21, v154
; %bb.13:
	v_add_co_u32 v0, s0, 0x6000, v0
	s_delay_alu instid0(VALU_DEP_1)
	v_add_co_ci_u32_e64 v1, s0, 0, v1, s0
	s_clause 0x2
	global_load_b128 v[134:137], v[4:5], off offset:3968
	global_load_b128 v[138:141], v[2:3], off offset:80
	;; [unrolled: 1-line block ×3, first 2 shown]
; %bb.14:
	s_or_b32 exec_lo, exec_lo, s4
.LBB0_15:
	s_delay_alu instid0(SALU_CYCLE_1)
	s_or_b32 exec_lo, exec_lo, s1
	s_waitcnt vmcnt(16)
	v_add_f64 v[0:1], v[34:35], v[66:67]
	s_waitcnt vmcnt(13)
	v_add_f64 v[2:3], v[30:31], v[58:59]
	;; [unrolled: 2-line block ×4, first 2 shown]
	v_add_f64 v[4:5], v[74:75], v[46:47]
	v_add_f64 v[6:7], v[42:43], v[142:143]
	;; [unrolled: 1-line block ×5, first 2 shown]
	v_add_f64 v[110:111], v[68:69], -v[36:37]
	v_add_f64 v[116:117], v[60:61], -v[32:33]
	v_add_f64 v[118:119], v[62:63], v[90:91]
	v_add_f64 v[122:123], v[142:143], v[14:15]
	;; [unrolled: 1-line block ×9, first 2 shown]
	v_add_f64 v[120:121], v[48:49], -v[76:77]
	v_add_f64 v[126:127], v[144:145], -v[44:45]
	;; [unrolled: 1-line block ×3, first 2 shown]
	s_mov_b32 s0, 0xe8584caa
	s_mov_b32 s1, 0xbfebb67a
	;; [unrolled: 1-line block ×4, first 2 shown]
	v_fma_f64 v[0:1], v[0:1], -0.5, v[22:23]
	v_fma_f64 v[2:3], v[2:3], -0.5, v[26:27]
	;; [unrolled: 1-line block ×3, first 2 shown]
	v_add_f64 v[94:95], v[140:141], -v[114:115]
	v_fma_f64 v[102:103], v[108:109], -0.5, v[134:135]
	v_fma_f64 v[4:5], v[4:5], -0.5, v[104:105]
	;; [unrolled: 1-line block ×4, first 2 shown]
	v_add_f64 v[14:15], v[64:65], -v[52:53]
	v_fma_f64 v[10:11], v[10:11], -0.5, v[90:91]
	v_add_f64 v[18:19], v[80:81], -v[56:57]
	v_fma_f64 v[12:13], v[12:13], -0.5, v[98:99]
	v_add_f64 v[22:23], v[88:89], -v[84:85]
	v_add_f64 v[104:105], v[50:51], v[118:119]
	v_add_f64 v[108:109], v[42:43], v[122:123]
	;; [unrolled: 1-line block ×9, first 2 shown]
	v_fma_f64 v[146:147], v[110:111], s[4:5], v[0:1]
	v_fma_f64 v[148:149], v[116:117], s[4:5], v[2:3]
	;; [unrolled: 1-line block ×18, first 2 shown]
	v_mad_u32_u24 v22, v154, 24, 0
	v_cmp_gt_u32_e64 s0, 21, v154
	s_delay_alu instid0(VALU_DEP_2)
	v_add_nc_u32_e32 v18, 0x11b8, v22
	v_add_nc_u32_e32 v27, 0xa00, v22
	;; [unrolled: 1-line block ×9, first 2 shown]
	ds_store_2addr_b64 v27, v[146:147], v[148:149] offset0:60 offset1:249
	ds_store_2addr_b64 v102, v[155:156], v[104:105] offset0:54 offset1:241
	ds_store_2addr_b64 v22, v[108:109], v[157:158] offset1:1
	ds_store_2addr_b64 v22, v[118:119], v[159:160] offset0:189 offset1:190
	ds_store_2addr_b64 v22, v[6:7], v[8:9] offset0:2 offset1:191
	ds_store_2addr_b64 v26, v[122:123], v[0:1] offset1:1
	ds_store_2addr_b64 v18, v[124:125], v[2:3] offset1:1
	;; [unrolled: 1-line block ×4, first 2 shown]
	ds_store_b64 v22, v[132:133] offset:9072
	ds_store_2addr_b64 v126, v[14:15], v[12:13] offset1:1
	ds_store_b64 v22, v[134:135] offset:10584
	ds_store_2addr_b64 v127, v[116:117], v[120:121] offset1:1
	s_and_saveexec_b32 s1, s0
	s_cbranch_execz .LBB0_17
; %bb.16:
	ds_store_2addr_b64 v19, v[90:91], v[98:99] offset1:1
	ds_store_b64 v18, v[94:95] offset:7576
.LBB0_17:
	s_or_b32 exec_lo, exec_lo, s1
	v_lshl_add_u32 v155, v154, 3, 0
	s_waitcnt lgkmcnt(0)
	s_barrier
	buffer_gl0_inv
	v_add_nc_u32_e32 v8, 0x1000, v155
	v_add_nc_u32_e32 v9, 0x2000, v155
	;; [unrolled: 1-line block ×3, first 2 shown]
	ds_load_2addr_b64 v[4:7], v155 offset1:63
	ds_load_2addr_b64 v[0:3], v155 offset0:126 offset1:189
	ds_load_2addr_b64 v[146:149], v8 offset0:13 offset1:76
	;; [unrolled: 1-line block ×4, first 2 shown]
	v_add_nc_u32_e32 v8, 0x400, v155
	v_add_nc_u32_e32 v102, 0x2800, v155
	;; [unrolled: 1-line block ×3, first 2 shown]
	ds_load_2addr_b64 v[132:135], v9 offset0:152 offset1:215
	ds_load_2addr_b64 v[12:15], v8 offset0:124 offset1:187
	;; [unrolled: 1-line block ×7, first 2 shown]
	s_and_saveexec_b32 s1, s0
	s_cbranch_execz .LBB0_19
; %bb.18:
	ds_load_b64 v[90:91], v155 offset:4032
	ds_load_b64 v[98:99], v155 offset:8232
	;; [unrolled: 1-line block ×3, first 2 shown]
.LBB0_19:
	s_or_b32 exec_lo, exec_lo, s1
	v_add_f64 v[156:157], v[44:45], v[144:145]
	v_add_f64 v[158:159], v[40:41], v[72:73]
	;; [unrolled: 1-line block ×10, first 2 shown]
	v_add_f64 v[42:43], v[142:143], -v[42:43]
	v_add_f64 v[72:73], v[72:73], v[20:21]
	v_add_f64 v[68:69], v[68:69], v[24:25]
	;; [unrolled: 1-line block ×5, first 2 shown]
	v_add_f64 v[38:39], v[70:71], -v[38:39]
	v_add_f64 v[34:35], v[66:67], -v[34:35]
	;; [unrolled: 1-line block ×8, first 2 shown]
	v_add_f64 v[48:49], v[48:49], v[106:107]
	v_add_f64 v[80:81], v[80:81], v[100:101]
	;; [unrolled: 1-line block ×3, first 2 shown]
	s_mov_b32 s4, 0xe8584caa
	s_mov_b32 s5, 0x3febb67a
	;; [unrolled: 1-line block ×4, first 2 shown]
	s_waitcnt lgkmcnt(0)
	s_barrier
	buffer_gl0_inv
	v_fma_f64 v[16:17], v[156:157], -0.5, v[16:17]
	v_fma_f64 v[20:21], v[158:159], -0.5, v[20:21]
	;; [unrolled: 1-line block ×9, first 2 shown]
	v_add_f64 v[44:45], v[44:45], v[144:145]
	v_add_f64 v[40:41], v[40:41], v[72:73]
	;; [unrolled: 1-line block ×9, first 2 shown]
	v_add_nc_u32_e32 v80, 0x2200, v22
	v_fma_f64 v[72:73], v[42:43], s[4:5], v[16:17]
	v_fma_f64 v[16:17], v[42:43], s[10:11], v[16:17]
	;; [unrolled: 1-line block ×18, first 2 shown]
	v_add_nc_u32_e32 v31, 0xa00, v22
	v_add_nc_u32_e32 v74, 0x1d88, v22
	;; [unrolled: 1-line block ×5, first 2 shown]
	ds_store_2addr_b64 v22, v[44:45], v[72:73] offset1:1
	ds_store_2addr_b64 v22, v[40:41], v[42:43] offset0:189 offset1:190
	ds_store_2addr_b64 v22, v[16:17], v[20:21] offset0:2 offset1:191
	ds_store_2addr_b64 v26, v[36:37], v[38:39] offset1:1
	ds_store_2addr_b64 v18, v[32:33], v[34:35] offset1:1
	ds_store_2addr_b64 v31, v[24:25], v[27:28] offset0:60 offset1:249
	ds_store_2addr_b64 v23, v[48:49], v[29:30] offset1:1
	ds_store_2addr_b64 v74, v[52:53], v[58:59] offset1:1
	;; [unrolled: 3-line block ×3, first 2 shown]
	ds_store_2addr_b64 v80, v[54:55], v[70:71] offset0:48 offset1:237
	s_and_saveexec_b32 s1, s0
	s_cbranch_execz .LBB0_21
; %bb.20:
	ds_store_2addr_b64 v19, v[64:65], v[68:69] offset1:1
	ds_store_b64 v18, v[66:67] offset:7576
.LBB0_21:
	s_or_b32 exec_lo, exec_lo, s1
	v_add_nc_u32_e32 v24, 0x1000, v155
	v_add_nc_u32_e32 v25, 0x2000, v155
	s_waitcnt lgkmcnt(0)
	s_barrier
	buffer_gl0_inv
	ds_load_2addr_b64 v[20:23], v155 offset1:63
	ds_load_2addr_b64 v[60:63], v24 offset0:13 offset1:76
	ds_load_2addr_b64 v[48:51], v25 offset0:26 offset1:89
	;; [unrolled: 1-line block ×4, first 2 shown]
	v_add_nc_u32_e32 v24, 0x400, v155
	v_add_nc_u32_e32 v32, 0x1800, v155
	;; [unrolled: 1-line block ×4, first 2 shown]
	ds_load_2addr_b64 v[56:59], v25 offset0:152 offset1:215
	ds_load_2addr_b64 v[28:31], v24 offset0:124 offset1:187
	;; [unrolled: 1-line block ×7, first 2 shown]
	s_and_saveexec_b32 s1, s0
	s_cbranch_execz .LBB0_23
; %bb.22:
	ds_load_b64 v[64:65], v155 offset:4032
	ds_load_b64 v[68:69], v155 offset:8232
	;; [unrolled: 1-line block ×3, first 2 shown]
.LBB0_23:
	s_or_b32 exec_lo, exec_lo, s1
	v_add_nc_u32_e32 v156, 63, v154
	v_and_b32_e32 v113, 0xff, v154
	v_add_nc_u32_e32 v157, 0x7e, v154
	v_add_nc_u32_e32 v158, 0xbd, v154
	;; [unrolled: 1-line block ×3, first 2 shown]
	v_and_b32_e32 v162, 0xff, v156
	v_mul_lo_u16 v70, 0xab, v113
	v_add_nc_u32_e32 v71, 0x13b, v154
	v_and_b32_e32 v161, 0xff, v157
	v_and_b32_e32 v160, 0xff, v158
	v_mul_lo_u16 v72, 0xab, v162
	v_lshrrev_b16 v225, 9, v70
	v_add_nc_u32_e32 v84, 0x17a, v154
	v_and_b32_e32 v112, 0xffff, v159
	v_and_b32_e32 v73, 0xffff, v71
	v_lshrrev_b16 v226, 9, v72
	v_mul_lo_u16 v72, v225, 3
	v_mul_lo_u16 v78, 0xab, v161
	;; [unrolled: 1-line block ×3, first 2 shown]
	v_add_nc_u32_e32 v70, 0x1b9, v154
	v_mul_lo_u16 v74, v226, 3
	v_sub_nc_u16 v72, v154, v72
	v_add_nc_u32_e32 v85, 0x1f8, v154
	v_and_b32_e32 v75, 0xffff, v84
	v_mul_u32_u24_e32 v80, 0xaaab, v112
	v_sub_nc_u16 v74, v156, v74
	v_and_b32_e32 v227, 0xff, v72
	v_mul_u32_u24_e32 v82, 0xaaab, v73
	v_lshrrev_b16 v229, 9, v78
	v_lshrrev_b16 v230, 9, v79
	v_and_b32_e32 v228, 0xff, v74
	v_and_b32_e32 v76, 0xffff, v70
	;; [unrolled: 1-line block ×3, first 2 shown]
	v_lshlrev_b32_e32 v81, 5, v227
	v_mul_u32_u24_e32 v83, 0xaaab, v75
	v_lshlrev_b32_e32 v87, 5, v228
	v_lshrrev_b32_e32 v231, 17, v80
	v_lshrrev_b32_e32 v232, 17, v82
	v_mul_lo_u16 v80, v229, 3
	v_mul_lo_u16 v82, v230, 3
	v_mul_u32_u24_e32 v86, 0xaaab, v76
	global_load_b128 v[72:75], v81, s[8:9]
	v_mul_u32_u24_e32 v88, 0xaaab, v77
	global_load_b128 v[76:79], v87, s[8:9]
	v_lshrrev_b32_e32 v233, 17, v83
	v_sub_nc_u16 v92, v157, v80
	v_sub_nc_u16 v96, v158, v82
	global_load_b128 v[80:83], v81, s[8:9] offset:16
	v_lshrrev_b32_e32 v234, 17, v86
	v_lshrrev_b32_e32 v235, 17, v88
	v_mul_lo_u16 v88, v232, 3
	v_mul_lo_u16 v86, v231, 3
	v_mul_lo_u16 v89, v233, 3
	v_mul_lo_u16 v93, v234, 3
	v_and_b32_e32 v236, 0xff, v92
	v_sub_nc_u16 v71, v71, v88
	v_sub_nc_u16 v86, v159, v86
	;; [unrolled: 1-line block ×4, first 2 shown]
	v_and_b32_e32 v237, 0xff, v96
	v_and_b32_e32 v239, 0xffff, v71
	v_mul_lo_u16 v71, v235, 3
	v_and_b32_e32 v238, 0xffff, v86
	v_and_b32_e32 v241, 0xffff, v70
	;; [unrolled: 1-line block ×3, first 2 shown]
	v_lshlrev_b32_e32 v88, 5, v236
	v_sub_nc_u16 v70, v85, v71
	v_lshlrev_b32_e32 v86, 5, v237
	s_clause 0x4
	global_load_b128 v[136:139], v87, s[8:9] offset:16
	global_load_b128 v[140:143], v88, s[8:9] offset:16
	global_load_b128 v[163:166], v88, s[8:9]
	global_load_b128 v[167:170], v86, s[8:9] offset:16
	global_load_b128 v[171:174], v86, s[8:9]
	v_lshlrev_b32_e32 v86, 5, v238
	v_and_b32_e32 v242, 0xffff, v70
	v_lshlrev_b32_e32 v71, 5, v240
	v_lshlrev_b32_e32 v87, 5, v239
	;; [unrolled: 1-line block ×3, first 2 shown]
	s_clause 0x1
	global_load_b128 v[175:178], v86, s[8:9]
	global_load_b128 v[179:182], v87, s[8:9]
	v_lshlrev_b32_e32 v70, 5, v242
	s_clause 0x7
	global_load_b128 v[183:186], v86, s[8:9] offset:16
	global_load_b128 v[187:190], v87, s[8:9] offset:16
	global_load_b128 v[191:194], v71, s[8:9]
	global_load_b128 v[195:198], v84, s[8:9]
	global_load_b128 v[199:202], v71, s[8:9] offset:16
	global_load_b128 v[203:206], v84, s[8:9] offset:16
	global_load_b128 v[207:210], v70, s[8:9]
	global_load_b128 v[211:214], v70, s[8:9] offset:16
	s_mov_b32 s4, 0xe8584caa
	s_mov_b32 s5, 0xbfebb67a
	;; [unrolled: 1-line block ×4, first 2 shown]
	s_waitcnt vmcnt(0) lgkmcnt(0)
	s_barrier
	buffer_gl0_inv
	v_mul_f64 v[70:71], v[60:61], v[74:75]
	v_mul_f64 v[74:75], v[146:147], v[74:75]
	;; [unrolled: 1-line block ×14, first 2 shown]
	v_fma_f64 v[70:71], v[146:147], v[72:73], v[70:71]
	v_fma_f64 v[72:73], v[60:61], v[72:73], -v[74:75]
	v_fma_f64 v[60:61], v[148:149], v[76:77], v[84:85]
	v_mul_f64 v[146:147], v[40:41], v[185:186]
	v_mul_f64 v[148:149], v[42:43], v[189:190]
	;; [unrolled: 1-line block ×5, first 2 shown]
	v_fma_f64 v[74:75], v[128:129], v[80:81], v[86:87]
	v_mul_f64 v[128:129], v[68:69], v[209:210]
	v_mul_f64 v[223:224], v[66:67], v[213:214]
	v_fma_f64 v[62:63], v[62:63], v[76:77], -v[78:79]
	v_fma_f64 v[48:49], v[48:49], v[80:81], -v[82:83]
	v_fma_f64 v[76:77], v[130:131], v[136:137], v[88:89]
	v_mul_f64 v[130:131], v[130:131], v[138:139]
	v_mul_f64 v[138:139], v[116:117], v[165:166]
	v_fma_f64 v[80:81], v[116:117], v[163:164], v[92:93]
	v_fma_f64 v[78:79], v[118:119], v[171:172], v[96:97]
	v_mul_f64 v[116:117], v[118:119], v[173:174]
	v_mul_f64 v[118:119], v[132:133], v[142:143]
	v_fma_f64 v[86:87], v[132:133], v[140:141], v[100:101]
	;; [unrolled: 4-line block ×3, first 2 shown]
	v_fma_f64 v[84:85], v[126:127], v[179:180], v[144:145]
	v_mul_f64 v[114:115], v[126:127], v[181:182]
	v_mul_f64 v[124:125], v[120:121], v[185:186]
	;; [unrolled: 1-line block ×4, first 2 shown]
	v_fma_f64 v[100:101], v[120:121], v[183:184], v[146:147]
	v_fma_f64 v[92:93], v[122:123], v[187:188], v[148:149]
	v_mul_f64 v[120:121], v[122:123], v[189:190]
	v_mul_f64 v[122:123], v[108:109], v[193:194]
	v_fma_f64 v[106:107], v[108:109], v[191:192], v[215:216]
	v_fma_f64 v[96:97], v[110:111], v[195:196], v[217:218]
	;; [unrolled: 1-line block ×4, first 2 shown]
	v_mul_f64 v[146:147], v[98:99], v[209:210]
	v_fma_f64 v[98:99], v[98:99], v[207:208], v[128:129]
	v_mul_f64 v[128:129], v[94:95], v[213:214]
	v_fma_f64 v[94:95], v[94:95], v[211:212], v[223:224]
	v_mul_f64 v[144:145], v[104:105], v[205:206]
	v_and_b32_e32 v148, 0xffff, v225
	v_and_b32_e32 v174, 0xffff, v229
	v_mul_u32_u24_e32 v177, 0x48, v232
	v_mul_u32_u24_e32 v178, 0x48, v233
	v_lshlrev_b32_e32 v181, 3, v227
	v_mul_u32_u24_e32 v173, 0x48, v148
	v_fma_f64 v[50:51], v[50:51], v[136:137], -v[130:131]
	v_fma_f64 v[104:105], v[44:45], v[163:164], -v[138:139]
	v_add_f64 v[130:131], v[72:73], -v[48:49]
	v_add_f64 v[136:137], v[2:3], v[78:79]
	v_fma_f64 v[110:111], v[46:47], v[171:172], -v[116:117]
	v_fma_f64 v[44:45], v[56:57], v[140:141], -v[118:119]
	v_add_f64 v[56:57], v[70:71], v[74:75]
	v_add_f64 v[116:117], v[78:79], v[82:83]
	v_fma_f64 v[46:47], v[58:59], v[167:168], -v[132:133]
	v_add_f64 v[58:59], v[60:61], v[76:77]
	v_fma_f64 v[52:53], v[52:53], v[175:176], -v[134:135]
	;; [unrolled: 2-line block ×3, first 2 shown]
	v_fma_f64 v[40:41], v[40:41], v[183:184], -v[124:125]
	v_add_f64 v[114:115], v[80:81], v[86:87]
	v_fma_f64 v[38:39], v[38:39], v[195:196], -v[126:127]
	v_add_f64 v[118:119], v[88:89], v[100:101]
	v_fma_f64 v[32:33], v[32:33], v[199:200], -v[142:143]
	v_fma_f64 v[42:43], v[42:43], v[187:188], -v[120:121]
	;; [unrolled: 1-line block ×3, first 2 shown]
	v_add_f64 v[120:121], v[84:85], v[92:93]
	v_add_f64 v[134:135], v[0:1], v[80:81]
	;; [unrolled: 1-line block ×4, first 2 shown]
	v_fma_f64 v[68:69], v[68:69], v[207:208], -v[146:147]
	v_add_f64 v[142:143], v[8:9], v[106:107]
	v_fma_f64 v[66:67], v[66:67], v[211:212], -v[128:129]
	v_add_f64 v[126:127], v[98:99], v[94:95]
	;; [unrolled: 2-line block ×3, first 2 shown]
	v_add_f64 v[144:145], v[10:11], v[96:97]
	v_add_f64 v[138:139], v[12:13], v[88:89]
	;; [unrolled: 1-line block ×3, first 2 shown]
	v_and_b32_e32 v175, 0xffff, v230
	v_mul_u32_u24_e32 v176, 0x48, v231
	v_mul_u32_u24_e32 v179, 0x48, v234
	v_add_f64 v[136:137], v[136:137], v[82:83]
	v_fma_f64 v[4:5], v[56:57], -0.5, v[4:5]
	v_add_f64 v[56:57], v[62:63], -v[50:51]
	v_add_f64 v[146:147], v[110:111], -v[46:47]
	v_fma_f64 v[6:7], v[58:59], -0.5, v[6:7]
	v_add_f64 v[58:59], v[104:105], -v[44:45]
	v_fma_f64 v[2:3], v[116:117], -0.5, v[2:3]
	v_add_f64 v[132:133], v[132:133], v[76:77]
	v_fma_f64 v[0:1], v[114:115], -0.5, v[0:1]
	v_add_f64 v[115:116], v[52:53], -v[40:41]
	v_fma_f64 v[12:13], v[118:119], -0.5, v[12:13]
	v_mul_lo_u16 v114, v235, 9
	v_add_f64 v[117:118], v[54:55], -v[42:43]
	v_fma_f64 v[14:15], v[120:121], -0.5, v[14:15]
	v_add_f64 v[119:120], v[36:37], -v[32:33]
	v_fma_f64 v[8:9], v[122:123], -0.5, v[8:9]
	v_fma_f64 v[10:11], v[124:125], -0.5, v[10:11]
	v_add_f64 v[134:135], v[134:135], v[86:87]
	v_add_f64 v[142:143], v[142:143], v[108:109]
	v_add_f64 v[123:124], v[68:69], -v[66:67]
	v_fma_f64 v[125:126], v[126:127], -0.5, v[90:91]
	v_add_f64 v[121:122], v[38:39], -v[34:35]
	v_and_b32_e32 v127, 0xffff, v226
	v_add_f64 v[144:145], v[144:145], v[102:103]
	v_add_f64 v[138:139], v[138:139], v[100:101]
	;; [unrolled: 1-line block ×3, first 2 shown]
	s_delay_alu instid0(VALU_DEP_4)
	v_mul_u32_u24_e32 v180, 0x48, v127
	v_add_f64 v[127:128], v[128:129], v[74:75]
	v_fma_f64 v[148:149], v[130:131], s[4:5], v[4:5]
	v_fma_f64 v[4:5], v[130:131], s[10:11], v[4:5]
	v_lshlrev_b32_e32 v131, 3, v241
	v_fma_f64 v[129:130], v[56:57], s[4:5], v[6:7]
	v_fma_f64 v[6:7], v[56:57], s[10:11], v[6:7]
	;; [unrolled: 1-line block ×8, first 2 shown]
	v_add3_u32 v116, 0, v173, v181
	v_lshlrev_b32_e32 v115, 3, v242
	v_fma_f64 v[167:168], v[117:118], s[4:5], v[14:15]
	v_fma_f64 v[14:15], v[117:118], s[10:11], v[14:15]
	;; [unrolled: 1-line block ×4, first 2 shown]
	v_mul_u32_u24_e32 v117, 0x48, v174
	v_mul_u32_u24_e32 v118, 0x48, v175
	v_lshlrev_b32_e32 v119, 3, v228
	v_fma_f64 v[0:1], v[123:124], s[4:5], v[125:126]
	v_fma_f64 v[2:3], v[123:124], s[10:11], v[125:126]
	;; [unrolled: 1-line block ×4, first 2 shown]
	v_lshlrev_b32_e32 v120, 3, v236
	v_lshlrev_b32_e32 v121, 3, v237
	;; [unrolled: 1-line block ×5, first 2 shown]
	v_add3_u32 v123, 0, v180, v119
	v_add3_u32 v122, 0, v117, v120
	;; [unrolled: 1-line block ×7, first 2 shown]
	ds_store_2addr_b64 v116, v[127:128], v[148:149] offset1:3
	ds_store_b64 v116, v[4:5] offset:48
	ds_store_2addr_b64 v123, v[132:133], v[129:130] offset1:3
	ds_store_b64 v123, v[6:7] offset:48
	;; [unrolled: 2-line block ×8, first 2 shown]
	s_and_saveexec_b32 s1, s0
	s_cbranch_execz .LBB0_25
; %bb.24:
	v_add_f64 v[4:5], v[90:91], v[98:99]
	v_and_b32_e32 v6, 0xffff, v114
	s_delay_alu instid0(VALU_DEP_1) | instskip(NEXT) | instid1(VALU_DEP_1)
	v_lshlrev_b32_e32 v6, 3, v6
	v_add3_u32 v6, 0, v115, v6
	s_delay_alu instid0(VALU_DEP_4)
	v_add_f64 v[4:5], v[4:5], v[94:95]
	ds_store_2addr_b64 v6, v[4:5], v[0:1] offset1:3
	ds_store_b64 v6, v[2:3] offset:48
.LBB0_25:
	s_or_b32 exec_lo, exec_lo, s1
	v_add_f64 v[4:5], v[72:73], v[48:49]
	v_add_f64 v[6:7], v[62:63], v[50:51]
	;; [unrolled: 1-line block ×10, first 2 shown]
	v_add_f64 v[70:71], v[70:71], -v[74:75]
	v_add_f64 v[74:75], v[22:23], v[62:63]
	v_add_f64 v[36:37], v[24:25], v[36:37]
	;; [unrolled: 1-line block ×3, first 2 shown]
	v_add_f64 v[60:61], v[60:61], -v[76:77]
	v_add_f64 v[78:79], v[78:79], -v[82:83]
	v_add_f64 v[104:105], v[16:17], v[104:105]
	v_add_f64 v[76:77], v[80:81], -v[86:87]
	v_add_f64 v[110:111], v[18:19], v[110:111]
	v_add_f64 v[52:53], v[28:29], v[52:53]
	v_add_f64 v[80:81], v[88:89], -v[100:101]
	v_add_f64 v[54:55], v[30:31], v[54:55]
	v_add_nc_u32_e32 v62, 0x1000, v155
	v_add_nc_u32_e32 v63, 0x1800, v155
	s_waitcnt lgkmcnt(0)
	s_barrier
	buffer_gl0_inv
	v_add_nc_u32_e32 v128, 0x800, v155
	v_add_nc_u32_e32 v129, 0x1400, v155
	;; [unrolled: 1-line block ×3, first 2 shown]
	v_fma_f64 v[4:5], v[4:5], -0.5, v[20:21]
	v_fma_f64 v[6:7], v[6:7], -0.5, v[22:23]
	;; [unrolled: 1-line block ×4, first 2 shown]
	v_add_f64 v[58:59], v[98:99], -v[94:95]
	v_fma_f64 v[82:83], v[90:91], -0.5, v[64:65]
	v_fma_f64 v[16:17], v[8:9], -0.5, v[16:17]
	;; [unrolled: 1-line block ×4, first 2 shown]
	v_add_f64 v[28:29], v[84:85], -v[92:93]
	v_fma_f64 v[14:15], v[14:15], -0.5, v[30:31]
	v_add_f64 v[30:31], v[106:107], -v[108:109]
	v_add_f64 v[56:57], v[96:97], -v[102:103]
	v_add_f64 v[72:73], v[72:73], v[48:49]
	v_add_f64 v[74:75], v[74:75], v[50:51]
	v_add_nc_u32_e32 v20, 0x400, v155
	v_add_f64 v[84:85], v[104:105], v[44:45]
	v_add_nc_u32_e32 v22, 0x2400, v155
	v_add_f64 v[86:87], v[110:111], v[46:47]
	v_add_f64 v[88:89], v[52:53], v[40:41]
	ds_load_2addr_b64 v[8:11], v155 offset1:63
	v_add_f64 v[90:91], v[54:55], v[42:43]
	v_add_f64 v[92:93], v[36:37], v[32:33]
	;; [unrolled: 1-line block ×3, first 2 shown]
	v_add_nc_u32_e32 v21, 0x1c00, v155
	v_fma_f64 v[96:97], v[70:71], s[10:11], v[4:5]
	v_fma_f64 v[98:99], v[70:71], s[4:5], v[4:5]
	;; [unrolled: 1-line block ×4, first 2 shown]
	v_add_nc_u32_e32 v70, 0x2800, v155
	v_fma_f64 v[4:5], v[58:59], s[10:11], v[82:83]
	v_fma_f64 v[6:7], v[58:59], s[4:5], v[82:83]
	;; [unrolled: 1-line block ×14, first 2 shown]
	ds_load_2addr_b64 v[12:15], v155 offset0:126 offset1:189
	v_add_nc_u32_e32 v71, 0xc00, v155
	ds_load_b64 v[60:61], v155 offset:12096
	ds_load_2addr_b64 v[16:19], v20 offset0:124 offset1:187
	ds_load_2addr_b64 v[52:55], v62 offset0:118 offset1:181
	;; [unrolled: 1-line block ×10, first 2 shown]
	s_waitcnt lgkmcnt(0)
	s_barrier
	buffer_gl0_inv
	ds_store_2addr_b64 v116, v[72:73], v[96:97] offset1:3
	ds_store_b64 v116, v[98:99] offset:48
	ds_store_2addr_b64 v123, v[74:75], v[100:101] offset1:3
	ds_store_b64 v123, v[102:103] offset:48
	;; [unrolled: 2-line block ×8, first 2 shown]
	s_and_saveexec_b32 s1, s0
	s_cbranch_execz .LBB0_27
; %bb.26:
	v_add_f64 v[64:65], v[64:65], v[68:69]
	v_and_b32_e32 v23, 0xffff, v114
	s_delay_alu instid0(VALU_DEP_1) | instskip(NEXT) | instid1(VALU_DEP_1)
	v_lshlrev_b32_e32 v23, 3, v23
	v_add3_u32 v23, 0, v115, v23
	s_delay_alu instid0(VALU_DEP_4)
	v_add_f64 v[64:65], v[64:65], v[66:67]
	ds_store_2addr_b64 v23, v[64:65], v[4:5] offset1:3
	ds_store_b64 v23, v[6:7] offset:48
.LBB0_27:
	s_or_b32 exec_lo, exec_lo, s1
	v_mul_lo_u16 v23, v113, 57
	v_mul_lo_u16 v66, v161, 57
	;; [unrolled: 1-line block ×4, first 2 shown]
	v_mul_u32_u24_e32 v72, 0xe38f, v112
	v_lshrrev_b16 v65, 9, v23
	v_lshrrev_b16 v69, 9, v66
	;; [unrolled: 1-line block ×4, first 2 shown]
	v_lshrrev_b32_e32 v133, 19, v72
	v_mul_lo_u16 v23, v65, 9
	s_waitcnt lgkmcnt(0)
	v_mul_lo_u16 v67, v64, 9
	v_mul_lo_u16 v76, v163, 9
	s_barrier
	v_sub_nc_u16 v23, v154, v23
	buffer_gl0_inv
	v_sub_nc_u16 v67, v156, v67
	v_mul_lo_u16 v82, v133, 9
	s_mov_b32 s4, 0x134454ff
	v_and_b32_e32 v66, 0xff, v23
	v_mul_lo_u16 v23, v69, 9
	v_and_b32_e32 v67, 0xff, v67
	s_mov_b32 s5, 0xbfee6f0e
	s_mov_b32 s11, 0x3fee6f0e
	v_lshlrev_b32_e32 v80, 6, v66
	v_sub_nc_u16 v23, v157, v23
	v_lshlrev_b32_e32 v81, 6, v67
	s_mov_b32 s10, s4
	s_mov_b32 s12, 0x4755a5e
	global_load_b128 v[72:75], v80, s[8:9] offset:144
	v_and_b32_e32 v68, 0xff, v23
	v_sub_nc_u16 v23, v158, v76
	s_clause 0x2
	global_load_b128 v[76:79], v81, s[8:9] offset:144
	global_load_b128 v[92:95], v80, s[8:9] offset:112
	;; [unrolled: 1-line block ×3, first 2 shown]
	s_mov_b32 s13, 0xbfe2cf23
	v_lshlrev_b32_e32 v83, 6, v68
	v_and_b32_e32 v164, 0xff, v23
	v_sub_nc_u16 v23, v159, v82
	s_clause 0x3
	global_load_b128 v[102:105], v81, s[8:9] offset:96
	global_load_b128 v[118:121], v83, s[8:9] offset:96
	;; [unrolled: 1-line block ×4, first 2 shown]
	v_lshlrev_b32_e32 v82, 6, v164
	v_and_b32_e32 v165, 0xffff, v23
	s_clause 0x1
	global_load_b128 v[142:145], v83, s[8:9] offset:112
	global_load_b128 v[146:149], v82, s[8:9] offset:112
	s_mov_b32 s15, 0x3fe2cf23
	v_lshlrev_b32_e32 v23, 6, v165
	s_clause 0x9
	global_load_b128 v[166:169], v83, s[8:9] offset:144
	global_load_b128 v[170:173], v82, s[8:9] offset:144
	;; [unrolled: 1-line block ×10, first 2 shown]
	ds_load_2addr_b64 v[202:205], v22 offset0:108 offset1:171
	ds_load_2addr_b64 v[206:209], v62 offset0:118 offset1:181
	;; [unrolled: 1-line block ×10, first 2 shown]
	ds_load_b64 v[248:249], v155 offset:12096
	s_mov_b32 s14, s12
	s_mov_b32 s16, 0x372fe950
	;; [unrolled: 1-line block ×3, first 2 shown]
	v_lshlrev_b32_e32 v66, 3, v66
	v_lshlrev_b32_e32 v67, 3, v67
	;; [unrolled: 1-line block ×3, first 2 shown]
	v_cmp_gt_u32_e64 s0, 36, v154
	s_waitcnt vmcnt(19) lgkmcnt(10)
	v_mul_f64 v[80:81], v[202:203], v[74:75]
	v_mul_f64 v[74:75], v[56:57], v[74:75]
	s_waitcnt vmcnt(18)
	v_mul_f64 v[82:83], v[204:205], v[78:79]
	s_waitcnt vmcnt(17) lgkmcnt(9)
	v_mul_f64 v[84:85], v[206:207], v[94:95]
	s_waitcnt vmcnt(16)
	v_mul_f64 v[86:87], v[208:209], v[100:101]
	s_waitcnt vmcnt(15) lgkmcnt(8)
	;; [unrolled: 4-line block ×3, first 2 shown]
	v_mul_f64 v[110:111], v[216:217], v[140:141]
	v_mul_f64 v[108:109], v[214:215], v[136:137]
	s_waitcnt vmcnt(9) lgkmcnt(5)
	v_mul_f64 v[116:117], v[222:223], v[168:169]
	s_waitcnt vmcnt(8)
	v_mul_f64 v[126:127], v[224:225], v[172:173]
	v_mul_f64 v[112:113], v[218:219], v[144:145]
	;; [unrolled: 1-line block ×3, first 2 shown]
	s_waitcnt vmcnt(7) lgkmcnt(4)
	v_mul_f64 v[130:131], v[226:227], v[176:177]
	s_waitcnt vmcnt(6)
	v_mul_f64 v[238:239], v[228:229], v[180:181]
	s_waitcnt vmcnt(5) lgkmcnt(3)
	v_mul_f64 v[240:241], v[232:233], v[124:125]
	s_waitcnt vmcnt(3) lgkmcnt(2)
	v_mul_f64 v[244:245], v[234:235], v[188:189]
	s_waitcnt vmcnt(2)
	v_mul_f64 v[246:247], v[236:237], v[192:193]
	v_mul_f64 v[242:243], v[230:231], v[184:185]
	v_fma_f64 v[88:89], v[56:57], v[72:73], v[80:81]
	v_fma_f64 v[72:73], v[202:203], v[72:73], -v[74:75]
	s_waitcnt vmcnt(1) lgkmcnt(1)
	v_mul_f64 v[202:203], v[22:23], v[196:197]
	v_mul_f64 v[56:57], v[58:59], v[78:79]
	;; [unrolled: 1-line block ×3, first 2 shown]
	v_fma_f64 v[82:83], v[58:59], v[76:77], v[82:83]
	v_mul_f64 v[58:59], v[54:55], v[100:101]
	v_fma_f64 v[100:101], v[52:53], v[92:93], v[84:85]
	v_fma_f64 v[78:79], v[54:55], v[98:99], v[86:87]
	v_mul_f64 v[52:53], v[48:49], v[104:105]
	v_fma_f64 v[96:97], v[48:49], v[102:103], v[90:91]
	v_mul_f64 v[48:49], v[44:45], v[136:137]
	v_mul_f64 v[136:137], v[46:47], v[140:141]
	v_fma_f64 v[84:85], v[46:47], v[138:139], v[110:111]
	v_mul_f64 v[46:47], v[42:43], v[148:149]
	v_fma_f64 v[80:81], v[50:51], v[118:119], v[106:107]
	v_fma_f64 v[86:87], v[42:43], v[146:147], v[114:115]
	s_waitcnt vmcnt(0) lgkmcnt(0)
	v_mul_f64 v[42:43], v[248:249], v[200:201]
	v_fma_f64 v[94:95], v[44:45], v[134:135], v[108:109]
	v_mul_f64 v[44:45], v[40:41], v[144:145]
	v_fma_f64 v[90:91], v[40:41], v[142:143], v[112:113]
	;; [unrolled: 2-line block ×3, first 2 shown]
	v_fma_f64 v[104:105], v[38:39], v[170:171], v[126:127]
	v_mul_f64 v[36:37], v[38:39], v[172:173]
	v_mul_f64 v[38:39], v[32:33], v[176:177]
	v_fma_f64 v[112:113], v[32:33], v[174:175], v[130:131]
	v_fma_f64 v[106:107], v[34:35], v[178:179], v[238:239]
	v_mul_f64 v[32:33], v[34:35], v[180:181]
	v_mul_f64 v[34:35], v[26:27], v[124:125]
	v_fma_f64 v[124:125], v[26:27], v[122:123], v[240:241]
	v_mul_f64 v[26:27], v[28:29], v[188:189]
	v_fma_f64 v[116:117], v[28:29], v[186:187], v[244:245]
	v_fma_f64 v[114:115], v[30:31], v[190:191], v[246:247]
	v_mul_f64 v[28:29], v[30:31], v[192:193]
	v_mul_f64 v[30:31], v[18:19], v[196:197]
	;; [unrolled: 1-line block ×3, first 2 shown]
	v_fma_f64 v[108:109], v[24:25], v[182:183], v[242:243]
	v_mul_f64 v[24:25], v[24:25], v[184:185]
	v_fma_f64 v[126:127], v[18:19], v[194:195], v[202:203]
	v_mul_f64 v[18:19], v[60:61], v[200:201]
	v_fma_f64 v[92:93], v[206:207], v[92:93], -v[74:75]
	v_fma_f64 v[98:99], v[208:209], v[98:99], -v[58:59]
	;; [unrolled: 1-line block ×3, first 2 shown]
	v_add_f64 v[168:169], v[12:13], v[80:81]
	v_fma_f64 v[120:121], v[60:61], v[198:199], v[42:43]
	v_add_f64 v[60:61], v[10:11], v[96:97]
	v_add_f64 v[184:185], v[94:95], -v[82:83]
	v_fma_f64 v[48:49], v[222:223], v[166:167], -v[40:41]
	v_add_f64 v[192:193], v[84:85], -v[110:111]
	v_add_f64 v[188:189], v[110:111], -v[84:85]
	v_fma_f64 v[134:135], v[224:225], v[170:171], -v[36:37]
	v_fma_f64 v[140:141], v[226:227], v[174:175], -v[38:39]
	v_add_f64 v[38:39], v[78:79], v[94:95]
	v_add_f64 v[36:37], v[90:91], v[84:85]
	v_fma_f64 v[148:149], v[228:229], v[178:179], -v[32:33]
	v_fma_f64 v[50:51], v[232:233], v[122:123], -v[34:35]
	;; [unrolled: 1-line block ×4, first 2 shown]
	v_add_f64 v[32:33], v[80:81], v[110:111]
	v_fma_f64 v[142:143], v[220:221], v[146:147], -v[46:47]
	v_fma_f64 v[144:145], v[236:237], v[190:191], -v[28:29]
	;; [unrolled: 1-line block ×3, first 2 shown]
	v_add_f64 v[30:31], v[100:101], v[124:125]
	v_fma_f64 v[22:23], v[204:205], v[76:77], -v[56:57]
	v_fma_f64 v[76:77], v[216:217], v[138:139], -v[136:137]
	;; [unrolled: 1-line block ×3, first 2 shown]
	v_add_f64 v[34:35], v[126:127], v[88:89]
	v_add_f64 v[26:27], v[96:97], v[82:83]
	v_fma_f64 v[118:119], v[212:213], v[118:119], -v[54:55]
	v_fma_f64 v[146:147], v[230:231], v[182:183], -v[24:25]
	v_add_f64 v[24:25], v[86:87], v[116:117]
	v_fma_f64 v[138:139], v[248:249], v[198:199], -v[18:19]
	v_add_f64 v[18:19], v[112:113], v[104:105]
	v_add_f64 v[28:29], v[108:109], v[114:115]
	;; [unrolled: 1-line block ×5, first 2 shown]
	v_add_f64 v[52:53], v[126:127], -v[100:101]
	v_add_f64 v[54:55], v[88:89], -v[124:125]
	;; [unrolled: 1-line block ×4, first 2 shown]
	v_add_f64 v[40:41], v[106:107], v[120:121]
	v_add_f64 v[56:57], v[100:101], -v[126:127]
	v_add_f64 v[58:59], v[124:125], -v[88:89]
	v_add_f64 v[60:61], v[60:61], v[78:79]
	v_add_f64 v[182:183], v[78:79], -v[96:97]
	v_add_f64 v[186:187], v[80:81], -v[90:91]
	;; [unrolled: 3-line block ×3, first 2 shown]
	v_fma_f64 v[38:39], v[38:39], -0.5, v[10:11]
	v_fma_f64 v[36:37], v[36:37], -0.5, v[12:13]
	v_add_f64 v[196:197], v[104:105], -v[116:117]
	v_add_f64 v[46:47], v[92:93], -v[50:51]
	;; [unrolled: 1-line block ×4, first 2 shown]
	v_fma_f64 v[12:13], v[32:33], -0.5, v[12:13]
	v_add_f64 v[202:203], v[106:107], -v[108:109]
	v_add_f64 v[204:205], v[120:121], -v[114:115]
	;; [unrolled: 1-line block ×3, first 2 shown]
	v_fma_f64 v[30:31], v[30:31], -0.5, v[8:9]
	v_add_f64 v[166:167], v[122:123], -v[22:23]
	v_add_f64 v[206:207], v[108:109], -v[106:107]
	;; [unrolled: 1-line block ×3, first 2 shown]
	v_fma_f64 v[8:9], v[34:35], -0.5, v[8:9]
	v_add_f64 v[34:35], v[98:99], -v[74:75]
	v_fma_f64 v[10:11], v[26:27], -0.5, v[10:11]
	v_add_f64 v[176:177], v[118:119], -v[48:49]
	v_add_f64 v[26:27], v[102:103], -v[76:77]
	v_fma_f64 v[24:25], v[24:25], -0.5, v[14:15]
	v_fma_f64 v[14:15], v[18:19], -0.5, v[14:15]
	v_add_f64 v[180:181], v[148:149], -v[138:139]
	v_fma_f64 v[28:29], v[28:29], -0.5, v[16:17]
	v_add_f64 v[18:19], v[146:147], -v[144:145]
	v_add_f64 v[42:43], v[42:43], v[100:101]
	v_add_f64 v[170:171], v[170:171], v[86:87]
	;; [unrolled: 1-line block ×3, first 2 shown]
	v_add_f64 v[208:209], v[114:115], -v[120:121]
	v_add_f64 v[52:53], v[52:53], v[54:55]
	v_fma_f64 v[16:17], v[40:41], -0.5, v[16:17]
	v_add_f64 v[40:41], v[82:83], -v[94:95]
	v_add_f64 v[54:55], v[56:57], v[58:59]
	v_add_f64 v[60:61], v[60:61], v[94:95]
	;; [unrolled: 1-line block ×8, first 2 shown]
	v_fma_f64 v[210:211], v[44:45], s[4:5], v[30:31]
	v_fma_f64 v[30:31], v[44:45], s[10:11], v[30:31]
	;; [unrolled: 1-line block ×18, first 2 shown]
	v_add_f64 v[42:43], v[42:43], v[124:125]
	v_fma_f64 v[228:229], v[18:19], s[10:11], v[16:17]
	v_fma_f64 v[16:17], v[18:19], s[4:5], v[16:17]
	v_add_f64 v[40:41], v[174:175], v[40:41]
	v_add_f64 v[174:175], v[190:191], v[192:193]
	;; [unrolled: 1-line block ×7, first 2 shown]
	v_fma_f64 v[190:191], v[46:47], s[12:13], v[210:211]
	v_fma_f64 v[30:31], v[46:47], s[14:15], v[30:31]
	;; [unrolled: 1-line block ×20, first 2 shown]
	v_add_f64 v[194:195], v[42:43], v[88:89]
	v_add_f64 v[170:171], v[170:171], v[104:105]
	;; [unrolled: 1-line block ×3, first 2 shown]
	ds_load_2addr_b64 v[16:19], v155 offset1:63
	v_fma_f64 v[190:191], v[52:53], s[16:17], v[190:191]
	v_fma_f64 v[30:31], v[52:53], s[16:17], v[30:31]
	;; [unrolled: 1-line block ×20, first 2 shown]
	v_and_b32_e32 v28, 0xffff, v65
	v_and_b32_e32 v29, 0xffff, v64
	;; [unrolled: 1-line block ×4, first 2 shown]
	v_mul_u32_u24_e32 v69, 0x168, v133
	v_mul_u32_u24_e32 v28, 0x168, v28
	;; [unrolled: 1-line block ×5, first 2 shown]
	v_lshlrev_b32_e32 v133, 3, v164
	v_lshlrev_b32_e32 v163, 3, v165
	v_add3_u32 v167, 0, v28, v66
	v_add3_u32 v166, 0, v29, v67
	ds_load_2addr_b64 v[40:43], v155 offset0:126 offset1:189
	s_waitcnt lgkmcnt(0)
	s_barrier
	buffer_gl0_inv
	v_add3_u32 v165, 0, v64, v68
	v_add3_u32 v164, 0, v65, v133
	;; [unrolled: 1-line block ×3, first 2 shown]
	ds_store_2addr_b64 v167, v[194:195], v[190:191] offset1:9
	ds_store_2addr_b64 v167, v[46:47], v[52:53] offset0:18 offset1:27
	ds_store_b64 v167, v[30:31] offset:288
	ds_store_2addr_b64 v166, v[60:61], v[44:45] offset1:9
	ds_store_2addr_b64 v166, v[38:39], v[54:55] offset0:18 offset1:27
	ds_store_b64 v166, v[34:35] offset:288
	;; [unrolled: 3-line block ×5, first 2 shown]
	s_waitcnt lgkmcnt(0)
	s_barrier
	buffer_gl0_inv
	ds_load_2addr_b64 v[28:31], v155 offset1:63
	ds_load_2addr_b64 v[24:27], v155 offset0:126 offset1:225
	ds_load_2addr_b64 v[64:67], v71 offset0:66 offset1:129
	;; [unrolled: 1-line block ×9, first 2 shown]
	ds_load_b64 v[132:133], v155 offset:11808
                                        ; implicit-def: $vgpr128_vgpr129
	s_and_saveexec_b32 s1, s0
	s_cbranch_execz .LBB0_29
; %bb.28:
	v_add_nc_u32_e32 v0, 0x500, v155
	v_add_nc_u32_e32 v1, 0x1380, v155
	;; [unrolled: 1-line block ×3, first 2 shown]
	ds_load_2addr_b64 v[8:11], v0 offset0:29 offset1:254
	ds_load_2addr_b64 v[12:15], v1 offset0:15 offset1:240
	;; [unrolled: 1-line block ×3, first 2 shown]
	ds_load_b64 v[128:129], v155 offset:12312
.LBB0_29:
	s_or_b32 exec_lo, exec_lo, s1
	v_add_f64 v[168:169], v[92:93], v[50:51]
	v_add_f64 v[170:171], v[130:131], v[72:73]
	;; [unrolled: 1-line block ×11, first 2 shown]
	v_add_f64 v[88:89], v[126:127], -v[88:89]
	v_add_f64 v[192:193], v[18:19], v[122:123]
	v_add_f64 v[82:83], v[96:97], -v[82:83]
	v_add_f64 v[96:97], v[40:41], v[118:119]
	v_add_f64 v[194:195], v[42:43], v[140:141]
	;; [unrolled: 1-line block ×3, first 2 shown]
	v_add_f64 v[100:101], v[100:101], -v[124:125]
	v_add_f64 v[78:79], v[78:79], -v[94:95]
	;; [unrolled: 1-line block ×18, first 2 shown]
	s_waitcnt lgkmcnt(0)
	s_barrier
	buffer_gl0_inv
	v_fma_f64 v[168:169], v[168:169], -0.5, v[16:17]
	v_fma_f64 v[16:17], v[170:171], -0.5, v[16:17]
	;; [unrolled: 1-line block ×10, first 2 shown]
	v_add_f64 v[176:177], v[140:141], -v[142:143]
	v_add_f64 v[140:141], v[142:143], -v[140:141]
	;; [unrolled: 1-line block ×4, first 2 shown]
	v_add_f64 v[92:93], v[188:189], v[92:93]
	v_add_f64 v[98:99], v[192:193], v[98:99]
	;; [unrolled: 1-line block ×5, first 2 shown]
	v_add_f64 v[172:173], v[48:49], -v[76:77]
	v_add_f64 v[174:175], v[76:77], -v[48:49]
	;; [unrolled: 1-line block ×6, first 2 shown]
	v_add_f64 v[124:125], v[124:125], v[126:127]
	v_add_f64 v[126:127], v[130:131], v[190:191]
	;; [unrolled: 1-line block ×4, first 2 shown]
	v_fma_f64 v[146:147], v[88:89], s[10:11], v[168:169]
	v_fma_f64 v[168:169], v[88:89], s[4:5], v[168:169]
	;; [unrolled: 1-line block ×20, first 2 shown]
	v_add_f64 v[50:51], v[92:93], v[50:51]
	v_add_f64 v[74:75], v[98:99], v[74:75]
	;; [unrolled: 1-line block ×11, first 2 shown]
	v_fma_f64 v[98:99], v[100:101], s[14:15], v[146:147]
	v_fma_f64 v[100:101], v[100:101], s[12:13], v[168:169]
	;; [unrolled: 1-line block ×20, first 2 shown]
	v_add_f64 v[72:73], v[50:51], v[72:73]
	v_add_f64 v[22:23], v[74:75], v[22:23]
	;; [unrolled: 1-line block ×5, first 2 shown]
	v_add_nc_u32_e32 v112, 0x2800, v155
	v_add_nc_u32_e32 v113, 0x800, v155
	v_fma_f64 v[96:97], v[124:125], s[16:17], v[98:99]
	v_fma_f64 v[98:99], v[124:125], s[16:17], v[100:101]
	;; [unrolled: 1-line block ×20, first 2 shown]
	v_add_nc_u32_e32 v104, 0xc00, v155
	v_add_nc_u32_e32 v105, 0x1000, v155
	;; [unrolled: 1-line block ×5, first 2 shown]
                                        ; implicit-def: $vgpr130_vgpr131
	ds_store_2addr_b64 v167, v[72:73], v[96:97] offset1:9
	ds_store_2addr_b64 v167, v[100:101], v[16:17] offset0:18 offset1:27
	ds_store_b64 v167, v[98:99] offset:288
	ds_store_2addr_b64 v166, v[22:23], v[88:89] offset1:9
	ds_store_2addr_b64 v166, v[94:95], v[18:19] offset0:18 offset1:27
	ds_store_b64 v166, v[78:79] offset:288
	;; [unrolled: 3-line block ×5, first 2 shown]
	s_waitcnt lgkmcnt(0)
	s_barrier
	buffer_gl0_inv
	ds_load_2addr_b64 v[20:23], v155 offset1:63
	ds_load_2addr_b64 v[16:19], v155 offset0:126 offset1:225
	ds_load_2addr_b64 v[92:95], v104 offset0:66 offset1:129
	;; [unrolled: 1-line block ×9, first 2 shown]
	ds_load_b64 v[134:135], v155 offset:11808
	s_and_saveexec_b32 s1, s0
	s_cbranch_execz .LBB0_31
; %bb.30:
	v_add_nc_u32_e32 v4, 0x500, v155
	v_add_nc_u32_e32 v5, 0x1380, v155
	;; [unrolled: 1-line block ×3, first 2 shown]
	ds_load_2addr_b64 v[48:51], v4 offset0:29 offset1:254
	ds_load_2addr_b64 v[40:43], v5 offset0:15 offset1:240
	;; [unrolled: 1-line block ×3, first 2 shown]
	ds_load_b64 v[130:131], v155 offset:12312
.LBB0_31:
	s_or_b32 exec_lo, exec_lo, s1
	v_mul_lo_u16 v104, 0x6d, v162
	v_mul_lo_u16 v105, 0x6d, v161
	v_subrev_nc_u32_e32 v108, 45, v154
	v_cmp_gt_u32_e64 s1, 45, v154
	s_mov_b32 s12, 0xe976ee23
	v_lshrrev_b16 v104, 8, v104
	v_lshrrev_b16 v106, 8, v105
	s_mov_b32 s4, 0x429ad128
	v_cndmask_b32_e64 v140, v108, v154, s1
	s_mov_b32 s14, 0x37e14327
	v_sub_nc_u16 v105, v156, v104
	v_sub_nc_u16 v107, v157, v106
	s_mov_b32 s10, 0x36b3c0b5
	s_mov_b32 s13, 0x3fe11646
	;; [unrolled: 1-line block ×3, first 2 shown]
	v_lshrrev_b16 v105, 1, v105
	v_lshrrev_b16 v107, 1, v107
	s_mov_b32 s15, 0x3fe948f6
	s_mov_b32 s11, 0x3fac98ee
	;; [unrolled: 1-line block ×3, first 2 shown]
	v_and_b32_e32 v109, 0x7f, v105
	v_and_b32_e32 v107, 0x7f, v107
	s_mov_b32 s18, 0xaaaaaaaa
	s_mov_b32 s16, 0x5476071b
	;; [unrolled: 1-line block ×3, first 2 shown]
	v_add_nc_u16 v108, v109, v104
	v_add_nc_u16 v106, v107, v106
	v_mul_i32_i24_e32 v104, 6, v140
	s_mov_b32 s21, 0x3fd5d0dc
	s_mov_b32 s19, 0xbff2aaaa
	v_lshrrev_b16 v141, 5, v108
	v_lshrrev_b16 v142, 5, v106
	s_mov_b32 s17, 0x3fe77f67
	s_mov_b32 s23, 0xbfe77f67
	;; [unrolled: 1-line block ×3, first 2 shown]
	v_mul_lo_u16 v106, v141, 45
	v_mul_lo_u16 v107, v142, 45
	s_mov_b32 s22, s16
	s_mov_b32 s26, 0x37c3f68c
	;; [unrolled: 1-line block ×3, first 2 shown]
	v_sub_nc_u16 v106, v156, v106
	s_delay_alu instid0(VALU_DEP_1) | instskip(SKIP_2) | instid1(VALU_DEP_3)
	v_and_b32_e32 v143, 0xff, v106
	v_sub_nc_u16 v106, v157, v107
	v_mov_b32_e32 v105, 0
	v_mul_u32_u24_e32 v107, 6, v143
	s_delay_alu instid0(VALU_DEP_3) | instskip(NEXT) | instid1(VALU_DEP_3)
	v_and_b32_e32 v144, 0xff, v106
	v_lshlrev_b64 v[104:105], 4, v[104:105]
	s_delay_alu instid0(VALU_DEP_3) | instskip(NEXT) | instid1(VALU_DEP_3)
	v_lshlrev_b32_e32 v106, 4, v107
	v_mul_u32_u24_e32 v107, 6, v144
	s_delay_alu instid0(VALU_DEP_3) | instskip(NEXT) | instid1(VALU_DEP_1)
	v_add_co_u32 v104, s1, s8, v104
	v_add_co_ci_u32_e64 v105, s1, s9, v105, s1
	s_delay_alu instid0(VALU_DEP_3)
	v_lshlrev_b32_e32 v107, 4, v107
	global_load_b128 v[169:172], v106, s[8:9] offset:688
	v_cmp_lt_u32_e64 s1, 44, v154
	s_clause 0x10
	global_load_b128 v[136:139], v[104:105], off offset:688
	global_load_b128 v[146:149], v[104:105], off offset:720
	;; [unrolled: 1-line block ×4, first 2 shown]
	global_load_b128 v[173:176], v106, s[8:9] offset:752
	global_load_b128 v[177:180], v[104:105], off offset:736
	global_load_b128 v[181:184], v106, s[8:9] offset:672
	global_load_b128 v[185:188], v107, s[8:9] offset:672
	global_load_b128 v[189:192], v106, s[8:9] offset:736
	global_load_b128 v[193:196], v107, s[8:9] offset:736
	global_load_b128 v[197:200], v107, s[8:9] offset:752
	global_load_b128 v[201:204], v107, s[8:9] offset:688
	global_load_b128 v[205:208], v[104:105], off offset:704
	global_load_b128 v[209:212], v106, s[8:9] offset:720
	global_load_b128 v[213:216], v106, s[8:9] offset:704
	;; [unrolled: 1-line block ×4, first 2 shown]
	v_mul_lo_u16 v104, 0x6d, v160
	s_delay_alu instid0(VALU_DEP_1) | instskip(NEXT) | instid1(VALU_DEP_1)
	v_lshrrev_b16 v104, 8, v104
	v_sub_nc_u16 v105, v158, v104
	s_delay_alu instid0(VALU_DEP_1) | instskip(NEXT) | instid1(VALU_DEP_1)
	v_lshrrev_b16 v105, 1, v105
	v_and_b32_e32 v105, 0x7f, v105
	s_delay_alu instid0(VALU_DEP_1) | instskip(NEXT) | instid1(VALU_DEP_1)
	v_add_nc_u16 v104, v105, v104
	v_lshrrev_b16 v104, 5, v104
	s_delay_alu instid0(VALU_DEP_1) | instskip(NEXT) | instid1(VALU_DEP_1)
	v_mul_lo_u16 v104, v104, 45
	v_sub_nc_u16 v104, v158, v104
	s_delay_alu instid0(VALU_DEP_1) | instskip(NEXT) | instid1(VALU_DEP_1)
	v_and_b32_e32 v145, 0xff, v104
	v_mul_u32_u24_e32 v104, 6, v145
	s_delay_alu instid0(VALU_DEP_1)
	v_lshlrev_b32_e32 v104, 4, v104
	s_clause 0x5
	global_load_b128 v[108:111], v104, s[8:9] offset:672
	global_load_b128 v[120:123], v104, s[8:9] offset:688
	;; [unrolled: 1-line block ×6, first 2 shown]
	s_waitcnt vmcnt(0) lgkmcnt(0)
	s_barrier
	buffer_gl0_inv
	v_mul_f64 v[235:236], v[102:103], v[175:176]
	v_mul_f64 v[237:238], v[78:79], v[179:180]
	;; [unrolled: 1-line block ×22, first 2 shown]
	v_fma_f64 v[64:65], v[64:65], v[136:137], v[225:226]
	v_fma_f64 v[136:137], v[92:93], v[136:137], -v[138:139]
	v_fma_f64 v[44:45], v[44:45], v[146:147], v[227:228]
	v_fma_f64 v[92:93], v[96:97], v[146:147], -v[148:149]
	v_mul_f64 v[96:97], v[98:99], v[211:212]
	v_mul_f64 v[146:147], v[46:47], v[211:212]
	v_fma_f64 v[68:69], v[68:69], v[161:162], v[229:230]
	v_fma_f64 v[100:101], v[100:101], v[161:162], -v[163:164]
	v_mul_f64 v[148:149], v[70:71], v[175:176]
	v_mul_f64 v[160:161], v[60:61], v[183:184]
	;; [unrolled: 4-line block ×3, first 2 shown]
	v_fma_f64 v[18:19], v[66:67], v[169:170], v[233:234]
	v_mul_f64 v[166:167], v[62:63], v[187:188]
	v_mul_f64 v[175:176], v[36:37], v[215:216]
	v_fma_f64 v[66:67], v[70:71], v[173:174], v[235:236]
	v_mul_f64 v[183:184], v[52:53], v[203:204]
	v_mul_f64 v[187:188], v[38:39], v[219:220]
	v_fma_f64 v[70:71], v[34:35], v[177:178], v[237:238]
	v_fma_f64 v[60:61], v[60:61], v[181:182], v[239:240]
	;; [unrolled: 1-line block ×3, first 2 shown]
	v_mul_f64 v[191:192], v[58:59], v[195:196]
	v_mul_f64 v[195:196], v[32:33], v[223:224]
	v_fma_f64 v[62:63], v[56:57], v[189:190], v[243:244]
	v_fma_f64 v[56:57], v[58:59], v[193:194], v[245:246]
	v_mul_f64 v[203:204], v[86:87], v[219:220]
	v_fma_f64 v[58:59], v[132:133], v[197:198], v[247:248]
	v_mul_f64 v[211:212], v[76:77], v[223:224]
	v_fma_f64 v[52:53], v[52:53], v[201:202], v[249:250]
	v_fma_f64 v[54:55], v[54:55], v[205:206], v[251:252]
	v_fma_f64 v[82:83], v[82:83], v[205:206], -v[207:208]
	v_fma_f64 v[132:133], v[78:79], v[177:178], -v[179:180]
	;; [unrolled: 1-line block ×3, first 2 shown]
	v_fma_f64 v[46:47], v[46:47], v[209:210], v[96:97]
	v_fma_f64 v[78:79], v[98:99], v[209:210], -v[146:147]
	v_fma_f64 v[96:97], v[102:103], v[173:174], -v[148:149]
	v_fma_f64 v[98:99], v[72:73], v[181:182], -v[160:161]
	v_add_f64 v[102:103], v[26:27], v[68:69]
	v_add_f64 v[168:169], v[138:139], -v[100:101]
	v_fma_f64 v[88:89], v[88:89], v[189:190], -v[162:163]
	v_fma_f64 v[36:37], v[36:37], v[213:214], v[164:165]
	v_fma_f64 v[74:75], v[74:75], v[185:186], -v[166:167]
	v_fma_f64 v[72:73], v[84:85], v[213:214], -v[175:176]
	;; [unrolled: 1-line block ×4, first 2 shown]
	v_add_f64 v[146:147], v[64:65], v[70:71]
	v_add_f64 v[148:149], v[60:61], v[66:67]
	v_fma_f64 v[86:87], v[90:91], v[193:194], -v[191:192]
	v_fma_f64 v[76:77], v[76:77], v[221:222], -v[195:196]
	v_add_f64 v[160:161], v[18:19], v[62:63]
	v_fma_f64 v[90:91], v[134:135], v[197:198], -v[199:200]
	v_fma_f64 v[38:39], v[38:39], v[217:218], v[203:204]
	v_add_f64 v[134:135], v[34:35], v[58:59]
	v_fma_f64 v[32:33], v[32:33], v[221:222], v[211:212]
	v_add_f64 v[162:163], v[52:53], v[56:57]
	v_add_f64 v[170:171], v[54:55], v[44:45]
	v_add_f64 v[166:167], v[92:93], -v[82:83]
	v_add_f64 v[164:165], v[136:137], -v[132:133]
	;; [unrolled: 1-line block ×4, first 2 shown]
	v_add_f64 v[184:185], v[36:37], v[46:47]
	v_add_f64 v[176:177], v[78:79], -v[72:73]
	v_add_f64 v[174:175], v[146:147], v[102:103]
	v_add_f64 v[180:181], v[84:85], -v[86:87]
	v_add_f64 v[182:183], v[76:77], -v[80:81]
	v_add_f64 v[186:187], v[160:161], v[148:149]
	v_add_f64 v[188:189], v[74:75], -v[90:91]
	v_add_f64 v[190:191], v[38:39], v[32:33]
	v_add_f64 v[192:193], v[162:163], v[134:135]
	v_add_f64 v[198:199], v[102:103], -v[170:171]
	v_add_f64 v[200:201], v[170:171], -v[146:147]
	v_add_f64 v[194:195], v[166:167], -v[164:165]
	v_add_f64 v[196:197], v[164:165], -v[168:169]
	v_add_f64 v[164:165], v[166:167], v[164:165]
	v_add_f64 v[102:103], v[146:147], -v[102:103]
	v_add_f64 v[166:167], v[168:169], -v[166:167]
	v_add_f64 v[202:203], v[172:173], -v[178:179]
	v_add_f64 v[206:207], v[148:149], -v[184:185]
	v_add_f64 v[148:149], v[160:161], -v[148:149]
	v_add_f64 v[146:147], v[176:177], v[172:173]
	v_add_f64 v[170:171], v[170:171], v[174:175]
	v_add_f64 v[174:175], v[176:177], -v[172:173]
	v_add_f64 v[176:177], v[178:179], -v[176:177]
	;; [unrolled: 1-line block ×3, first 2 shown]
	v_add_f64 v[186:187], v[184:185], v[186:187]
	v_add_f64 v[184:185], v[184:185], -v[160:161]
	v_add_f64 v[208:209], v[180:181], -v[188:189]
	v_add_f64 v[172:173], v[182:183], v[180:181]
	v_add_f64 v[210:211], v[134:135], -v[190:191]
	v_add_f64 v[192:193], v[190:191], v[192:193]
	v_add_f64 v[190:191], v[190:191], -v[162:163]
	v_mul_f64 v[198:199], v[198:199], s[14:15]
	v_mul_f64 v[180:181], v[194:195], s[12:13]
	;; [unrolled: 1-line block ×3, first 2 shown]
	v_add_f64 v[182:183], v[188:189], -v[182:183]
	v_add_f64 v[134:135], v[162:163], -v[134:135]
	v_mul_f64 v[212:213], v[200:201], s[10:11]
	v_add_f64 v[164:165], v[164:165], v[168:169]
	v_mul_f64 v[214:215], v[202:203], s[4:5]
	v_mul_f64 v[206:207], v[206:207], s[14:15]
	v_add_f64 v[146:147], v[146:147], v[178:179]
	v_add_f64 v[28:29], v[28:29], v[170:171]
	v_mul_f64 v[174:175], v[174:175], s[12:13]
	v_mul_f64 v[204:205], v[204:205], s[12:13]
	v_add_f64 v[30:31], v[30:31], v[186:187]
	v_mul_f64 v[160:161], v[184:185], s[10:11]
	v_mul_f64 v[216:217], v[208:209], s[4:5]
	v_add_f64 v[168:169], v[172:173], v[188:189]
	v_mul_f64 v[210:211], v[210:211], s[14:15]
	v_add_f64 v[24:25], v[24:25], v[192:193]
	v_mul_f64 v[162:163], v[190:191], s[10:11]
	v_fma_f64 v[188:189], v[102:103], s[22:23], -v[198:199]
	v_fma_f64 v[172:173], v[196:197], s[4:5], -v[180:181]
	v_fma_f64 v[178:179], v[166:167], s[24:25], v[180:181]
	v_fma_f64 v[166:167], v[166:167], s[20:21], -v[194:195]
	v_fma_f64 v[180:181], v[200:201], s[10:11], v[198:199]
	v_fma_f64 v[102:103], v[102:103], s[16:17], -v[212:213]
	v_mul_f64 v[212:213], v[130:131], v[106:107]
	v_fma_f64 v[184:185], v[184:185], s[10:11], v[206:207]
	v_fma_f64 v[198:199], v[148:149], s[22:23], -v[206:207]
	v_mul_f64 v[206:207], v[4:5], v[114:115]
	v_fma_f64 v[170:171], v[170:171], s[18:19], v[28:29]
	v_fma_f64 v[194:195], v[202:203], s[4:5], -v[174:175]
	v_fma_f64 v[174:175], v[176:177], s[24:25], v[174:175]
	v_fma_f64 v[176:177], v[176:177], s[20:21], -v[214:215]
	v_fma_f64 v[196:197], v[182:183], s[24:25], v[204:205]
	v_fma_f64 v[186:187], v[186:187], s[18:19], v[30:31]
	v_fma_f64 v[148:149], v[148:149], s[16:17], -v[160:161]
	v_fma_f64 v[160:161], v[208:209], s[4:5], -v[204:205]
	;; [unrolled: 1-line block ×3, first 2 shown]
	v_fma_f64 v[190:191], v[190:191], s[10:11], v[210:211]
	v_fma_f64 v[192:193], v[192:193], s[18:19], v[24:25]
	v_fma_f64 v[200:201], v[134:135], s[22:23], -v[210:211]
	v_fma_f64 v[134:135], v[134:135], s[16:17], -v[162:163]
	v_mul_f64 v[162:163], v[50:51], v[110:111]
	v_mul_f64 v[110:111], v[10:11], v[110:111]
	;; [unrolled: 1-line block ×9, first 2 shown]
	v_fma_f64 v[178:179], v[164:165], s[26:27], v[178:179]
	v_fma_f64 v[172:173], v[164:165], s[26:27], v[172:173]
	;; [unrolled: 1-line block ×3, first 2 shown]
	v_add_f64 v[166:167], v[180:181], v[170:171]
	v_add_f64 v[180:181], v[188:189], v[170:171]
	v_fma_f64 v[174:175], v[146:147], s[26:27], v[174:175]
	v_fma_f64 v[188:189], v[146:147], s[26:27], v[194:195]
	;; [unrolled: 1-line block ×3, first 2 shown]
	v_add_f64 v[176:177], v[184:185], v[186:187]
	v_add_f64 v[184:185], v[198:199], v[186:187]
	;; [unrolled: 1-line block ×3, first 2 shown]
	v_fma_f64 v[186:187], v[168:169], s[26:27], v[196:197]
	v_fma_f64 v[160:161], v[168:169], s[26:27], v[160:161]
	;; [unrolled: 1-line block ×3, first 2 shown]
	v_add_f64 v[182:183], v[190:191], v[192:193]
	v_add_f64 v[190:191], v[200:201], v[192:193]
	;; [unrolled: 1-line block ×3, first 2 shown]
	v_mul_f64 v[192:193], v[128:129], v[106:107]
	v_add_f64 v[170:171], v[102:103], v[170:171]
	v_fma_f64 v[102:103], v[10:11], v[108:109], v[162:163]
	v_fma_f64 v[110:111], v[50:51], v[108:109], -v[110:111]
	v_fma_f64 v[50:51], v[12:13], v[120:121], v[202:203]
	v_fma_f64 v[114:115], v[40:41], v[120:121], -v[122:123]
	;; [unrolled: 2-line block ×5, first 2 shown]
	v_fma_f64 v[120:121], v[128:129], v[104:105], v[212:213]
	v_and_b32_e32 v124, 0xffff, v141
	v_and_b32_e32 v125, 0xffff, v142
	v_cndmask_b32_e64 v126, 0, 0x9d8, s1
	v_lshlrev_b32_e32 v127, 3, v140
	v_lshlrev_b32_e32 v140, 3, v143
	;; [unrolled: 1-line block ×3, first 2 shown]
	v_add_f64 v[0:1], v[178:179], v[166:167]
	v_add_f64 v[2:3], v[164:165], v[180:181]
	v_add_f64 v[10:11], v[180:181], -v[164:165]
	v_add_f64 v[12:13], v[166:167], -v[178:179]
	v_add_f64 v[14:15], v[174:175], v[176:177]
	v_add_f64 v[40:41], v[146:147], v[184:185]
	v_add_f64 v[42:43], v[148:149], -v[188:189]
	v_add_f64 v[128:129], v[188:189], v[148:149]
	v_add_f64 v[146:147], v[184:185], -v[146:147]
	v_add_f64 v[148:149], v[176:177], -v[174:175]
	v_add_f64 v[162:163], v[186:187], v[182:183]
	v_add_f64 v[164:165], v[168:169], v[190:191]
	v_add_f64 v[166:167], v[134:135], -v[160:161]
	v_fma_f64 v[104:105], v[130:131], v[104:105], -v[192:193]
	v_add_f64 v[4:5], v[170:171], -v[172:173]
	v_add_f64 v[6:7], v[172:173], v[170:171]
	v_add_f64 v[134:135], v[160:161], v[134:135]
	v_add_f64 v[160:161], v[190:191], -v[168:169]
	v_add_f64 v[168:169], v[182:183], -v[186:187]
	v_mul_u32_u24_e32 v130, 0x9d8, v124
	v_mul_u32_u24_e32 v131, 0x9d8, v125
	v_add3_u32 v125, 0, v126, v127
	v_lshl_add_u32 v124, v145, 3, 0
	s_delay_alu instid0(VALU_DEP_4) | instskip(NEXT) | instid1(VALU_DEP_4)
	v_add3_u32 v127, 0, v130, v140
	v_add3_u32 v126, 0, v131, v141
	ds_store_2addr_b64 v125, v[28:29], v[0:1] offset1:45
	ds_store_2addr_b64 v125, v[2:3], v[4:5] offset0:90 offset1:135
	ds_store_2addr_b64 v125, v[6:7], v[10:11] offset0:180 offset1:225
	ds_store_b64 v125, v[12:13] offset:2160
	ds_store_2addr_b64 v127, v[30:31], v[14:15] offset1:45
	ds_store_2addr_b64 v127, v[40:41], v[42:43] offset0:90 offset1:135
	ds_store_2addr_b64 v127, v[128:129], v[146:147] offset0:180 offset1:225
	ds_store_b64 v127, v[148:149] offset:2160
	;; [unrolled: 4-line block ×3, first 2 shown]
	s_and_saveexec_b32 s1, s0
	s_cbranch_execz .LBB0_33
; %bb.32:
	v_add_f64 v[0:1], v[50:51], v[118:119]
	v_add_f64 v[2:3], v[102:103], v[120:121]
	v_add_f64 v[4:5], v[112:113], -v[116:117]
	v_add_f64 v[6:7], v[114:115], -v[122:123]
	v_add_f64 v[10:11], v[106:107], v[108:109]
	v_add_f64 v[12:13], v[110:111], -v[104:105]
	v_add_f64 v[14:15], v[0:1], v[2:3]
	s_delay_alu instid0(VALU_DEP_4) | instskip(NEXT) | instid1(VALU_DEP_4)
	v_add_f64 v[24:25], v[4:5], -v[6:7]
	v_add_f64 v[28:29], v[2:3], -v[10:11]
	s_delay_alu instid0(VALU_DEP_4)
	v_add_f64 v[30:31], v[6:7], -v[12:13]
	v_add_f64 v[6:7], v[4:5], v[6:7]
	v_add_f64 v[4:5], v[12:13], -v[4:5]
	v_add_f64 v[14:15], v[10:11], v[14:15]
	v_add_f64 v[10:11], v[10:11], -v[0:1]
	v_add_f64 v[0:1], v[0:1], -v[2:3]
	v_mul_f64 v[2:3], v[24:25], s[12:13]
	v_mul_f64 v[24:25], v[28:29], s[14:15]
	;; [unrolled: 1-line block ×3, first 2 shown]
	v_add_f64 v[6:7], v[6:7], v[12:13]
	v_add_f64 v[8:9], v[8:9], v[14:15]
	v_mul_f64 v[40:41], v[10:11], s[10:11]
	v_fma_f64 v[12:13], v[4:5], s[24:25], v[2:3]
	v_fma_f64 v[10:11], v[10:11], s[10:11], v[24:25]
	v_fma_f64 v[42:43], v[0:1], s[22:23], -v[24:25]
	v_fma_f64 v[4:5], v[4:5], s[20:21], -v[28:29]
	;; [unrolled: 1-line block ×3, first 2 shown]
	v_fma_f64 v[14:15], v[14:15], s[18:19], v[8:9]
	v_fma_f64 v[0:1], v[0:1], s[16:17], -v[40:41]
	v_fma_f64 v[12:13], v[6:7], s[26:27], v[12:13]
	v_fma_f64 v[4:5], v[6:7], s[26:27], v[4:5]
	;; [unrolled: 1-line block ×3, first 2 shown]
	v_add_f64 v[10:11], v[10:11], v[14:15]
	v_add_f64 v[6:7], v[42:43], v[14:15]
	v_add_f64 v[0:1], v[0:1], v[14:15]
	s_delay_alu instid0(VALU_DEP_3) | instskip(NEXT) | instid1(VALU_DEP_3)
	v_add_f64 v[28:29], v[12:13], v[10:11]
	v_add_f64 v[14:15], v[6:7], -v[4:5]
	s_delay_alu instid0(VALU_DEP_3)
	v_add_f64 v[24:25], v[0:1], -v[2:3]
	v_add_f64 v[4:5], v[4:5], v[6:7]
	v_add_f64 v[0:1], v[2:3], v[0:1]
	v_add_f64 v[2:3], v[10:11], -v[12:13]
	v_add_nc_u32_e32 v6, 0x2400, v124
	v_add_nc_u32_e32 v7, 0x2800, v124
	ds_store_2addr_b64 v6, v[8:9], v[28:29] offset0:108 offset1:153
	ds_store_2addr_b64 v7, v[4:5], v[24:25] offset0:70 offset1:115
	;; [unrolled: 1-line block ×3, first 2 shown]
	ds_store_b64 v124, v[2:3] offset:12240
.LBB0_33:
	s_or_b32 exec_lo, exec_lo, s1
	v_add_f64 v[0:1], v[138:139], v[100:101]
	v_add_f64 v[2:3], v[136:137], v[132:133]
	;; [unrolled: 1-line block ×7, first 2 shown]
	v_add_f64 v[14:15], v[64:65], -v[70:71]
	v_add_f64 v[24:25], v[44:45], -v[54:55]
	;; [unrolled: 1-line block ×3, first 2 shown]
	v_add_f64 v[30:31], v[72:73], v[78:79]
	v_add_f64 v[18:19], v[18:19], -v[62:63]
	v_add_f64 v[36:37], v[46:47], -v[36:37]
	;; [unrolled: 1-line block ×4, first 2 shown]
	v_add_f64 v[46:47], v[80:81], v[76:77]
	v_add_f64 v[32:33], v[32:33], -v[38:39]
	v_add_f64 v[34:35], v[34:35], -v[58:59]
	s_waitcnt lgkmcnt(0)
	s_barrier
	buffer_gl0_inv
	v_add_f64 v[28:29], v[2:3], v[0:1]
	v_add_f64 v[42:43], v[6:7], v[4:5]
	;; [unrolled: 1-line block ×3, first 2 shown]
	v_add_f64 v[52:53], v[0:1], -v[12:13]
	v_add_f64 v[54:55], v[12:13], -v[2:3]
	;; [unrolled: 1-line block ×8, first 2 shown]
	v_add_f64 v[2:3], v[24:25], v[14:15]
	v_add_f64 v[14:15], v[26:27], -v[24:25]
	v_add_f64 v[66:67], v[32:33], -v[44:45]
	;; [unrolled: 1-line block ×3, first 2 shown]
	v_add_f64 v[18:19], v[36:37], v[18:19]
	v_add_f64 v[24:25], v[32:33], v[44:45]
	v_add_f64 v[36:37], v[40:41], -v[36:37]
	v_add_f64 v[12:13], v[12:13], v[28:29]
	v_add_f64 v[28:29], v[4:5], -v[30:31]
	;; [unrolled: 2-line block ×4, first 2 shown]
	v_mul_f64 v[44:45], v[52:53], s[14:15]
	v_add_f64 v[4:5], v[6:7], -v[4:5]
	v_mul_f64 v[6:7], v[56:57], s[12:13]
	v_mul_f64 v[52:53], v[54:55], s[10:11]
	;; [unrolled: 1-line block ×5, first 2 shown]
	v_add_f64 v[8:9], v[10:11], -v[8:9]
	v_add_f64 v[2:3], v[2:3], v[26:27]
	v_add_f64 v[70:71], v[20:21], v[12:13]
	v_mul_f64 v[20:21], v[28:29], s[14:15]
	v_add_f64 v[74:75], v[22:23], v[30:31]
	v_mul_f64 v[28:29], v[60:61], s[10:11]
	v_add_f64 v[22:23], v[34:35], -v[32:33]
	v_mul_f64 v[32:33], v[42:43], s[14:15]
	v_mul_f64 v[42:43], v[66:67], s[12:13]
	v_add_f64 v[76:77], v[16:17], v[38:39]
	v_mul_f64 v[10:11], v[46:47], s[10:11]
	v_mul_f64 v[66:67], v[68:69], s[4:5]
	v_add_f64 v[16:17], v[18:19], v[40:41]
	v_add_f64 v[18:19], v[24:25], v[34:35]
	v_fma_f64 v[24:25], v[54:55], s[10:11], v[44:45]
	v_fma_f64 v[34:35], v[14:15], s[24:25], v[6:7]
	v_fma_f64 v[26:27], v[0:1], s[16:17], -v[52:53]
	v_fma_f64 v[0:1], v[0:1], s[22:23], -v[44:45]
	;; [unrolled: 1-line block ×4, first 2 shown]
	v_fma_f64 v[44:45], v[36:37], s[24:25], v[62:63]
	v_fma_f64 v[52:53], v[64:65], s[4:5], -v[62:63]
	v_fma_f64 v[36:37], v[36:37], s[20:21], -v[72:73]
	v_fma_f64 v[12:13], v[12:13], s[18:19], v[70:71]
	v_fma_f64 v[40:41], v[60:61], s[10:11], v[20:21]
	v_fma_f64 v[30:31], v[30:31], s[18:19], v[74:75]
	v_fma_f64 v[28:29], v[4:5], s[16:17], -v[28:29]
	v_fma_f64 v[4:5], v[4:5], s[22:23], -v[20:21]
	v_fma_f64 v[20:21], v[46:47], s[10:11], v[32:33]
	v_fma_f64 v[46:47], v[22:23], s[24:25], v[42:43]
	v_fma_f64 v[42:43], v[68:69], s[4:5], -v[42:43]
	v_fma_f64 v[38:39], v[38:39], s[18:19], v[76:77]
	v_fma_f64 v[32:33], v[8:9], s[22:23], -v[32:33]
	v_fma_f64 v[8:9], v[8:9], s[16:17], -v[10:11]
	;; [unrolled: 1-line block ×3, first 2 shown]
	v_fma_f64 v[10:11], v[2:3], s[26:27], v[34:35]
	v_fma_f64 v[6:7], v[2:3], s[26:27], v[6:7]
	;; [unrolled: 1-line block ×3, first 2 shown]
	v_add_f64 v[24:25], v[24:25], v[12:13]
	v_add_f64 v[34:35], v[0:1], v[12:13]
	;; [unrolled: 1-line block ×3, first 2 shown]
	v_fma_f64 v[26:27], v[16:17], s[26:27], v[44:45]
	v_fma_f64 v[44:45], v[16:17], s[26:27], v[52:53]
	;; [unrolled: 1-line block ×3, first 2 shown]
	v_add_f64 v[36:37], v[40:41], v[30:31]
	v_add_f64 v[4:5], v[4:5], v[30:31]
	;; [unrolled: 1-line block ×3, first 2 shown]
	v_fma_f64 v[30:31], v[18:19], s[26:27], v[46:47]
	v_fma_f64 v[40:41], v[18:19], s[26:27], v[42:43]
	v_add_f64 v[20:21], v[20:21], v[38:39]
	v_add_f64 v[8:9], v[8:9], v[38:39]
	v_fma_f64 v[18:19], v[18:19], s[26:27], v[22:23]
	v_add_f64 v[22:23], v[32:33], v[38:39]
	v_add_nc_u32_e32 v32, 0x400, v155
	v_add_nc_u32_e32 v33, 0x1000, v155
	;; [unrolled: 1-line block ×3, first 2 shown]
	ds_load_2addr_b64 v[0:3], v155 offset1:63
	v_add_f64 v[52:53], v[24:25], -v[10:11]
	v_add_f64 v[54:55], v[34:35], -v[14:15]
	v_add_f64 v[56:57], v[6:7], v[12:13]
	v_add_f64 v[58:59], v[12:13], -v[6:7]
	v_add_f64 v[60:61], v[14:15], v[34:35]
	v_add_f64 v[62:63], v[10:11], v[24:25]
	v_add_f64 v[64:65], v[36:37], -v[26:27]
	v_add_f64 v[66:67], v[4:5], -v[16:17]
	v_add_f64 v[68:69], v[44:45], v[28:29]
	v_add_f64 v[72:73], v[28:29], -v[44:45]
	v_add_f64 v[78:79], v[16:17], v[4:5]
	v_add_f64 v[80:81], v[26:27], v[36:37]
	v_add_f64 v[82:83], v[20:21], -v[30:31]
	v_add_f64 v[86:87], v[40:41], v[8:9]
	v_add_f64 v[88:89], v[8:9], -v[40:41]
	v_add_nc_u32_e32 v12, 0x2400, v155
	v_add_nc_u32_e32 v24, 0x800, v155
	;; [unrolled: 1-line block ×7, first 2 shown]
	v_add_f64 v[84:85], v[22:23], -v[18:19]
	v_add_f64 v[90:91], v[18:19], v[22:23]
	v_add_f64 v[92:93], v[30:31], v[20:21]
	ds_load_2addr_b64 v[4:7], v155 offset0:126 offset1:189
	ds_load_b64 v[138:139], v155 offset:12096
	ds_load_2addr_b64 v[8:11], v32 offset0:124 offset1:187
	ds_load_2addr_b64 v[16:19], v33 offset0:118 offset1:181
	ds_load_2addr_b64 v[20:23], v38 offset0:114 offset1:177
	ds_load_2addr_b64 v[12:15], v12 offset0:108 offset1:171
	ds_load_2addr_b64 v[24:27], v24 offset0:122 offset1:185
	ds_load_2addr_b64 v[28:31], v28 offset0:112 offset1:175
	ds_load_2addr_b64 v[36:39], v34 offset0:116 offset1:179
	ds_load_2addr_b64 v[32:35], v35 offset0:106 offset1:169
	ds_load_2addr_b64 v[40:43], v40 offset0:120 offset1:183
	ds_load_2addr_b64 v[44:47], v44 offset0:110 offset1:173
	s_waitcnt lgkmcnt(0)
	s_barrier
	buffer_gl0_inv
	ds_store_2addr_b64 v125, v[70:71], v[52:53] offset1:45
	ds_store_2addr_b64 v125, v[54:55], v[56:57] offset0:90 offset1:135
	ds_store_2addr_b64 v125, v[58:59], v[60:61] offset0:180 offset1:225
	ds_store_b64 v125, v[62:63] offset:2160
	ds_store_2addr_b64 v127, v[74:75], v[64:65] offset1:45
	ds_store_2addr_b64 v127, v[66:67], v[68:69] offset0:90 offset1:135
	ds_store_2addr_b64 v127, v[72:73], v[78:79] offset0:180 offset1:225
	ds_store_b64 v127, v[80:81] offset:2160
	;; [unrolled: 4-line block ×3, first 2 shown]
	s_and_saveexec_b32 s1, s0
	s_cbranch_execz .LBB0_35
; %bb.34:
	v_add_f64 v[52:53], v[110:111], v[104:105]
	v_add_f64 v[54:55], v[114:115], v[122:123]
	;; [unrolled: 1-line block ×3, first 2 shown]
	v_add_f64 v[50:51], v[50:51], -v[118:119]
	v_add_f64 v[58:59], v[108:109], -v[106:107]
	;; [unrolled: 1-line block ×3, first 2 shown]
	s_mov_b32 s4, 0x37e14327
	s_mov_b32 s5, 0x3fe948f6
	;; [unrolled: 1-line block ×6, first 2 shown]
	v_add_f64 v[62:63], v[54:55], v[52:53]
	v_add_f64 v[64:65], v[52:53], -v[56:57]
	v_add_f64 v[66:67], v[56:57], -v[54:55]
	;; [unrolled: 1-line block ×5, first 2 shown]
	v_add_f64 v[50:51], v[58:59], v[50:51]
	v_add_f64 v[54:55], v[60:61], -v[58:59]
	v_add_f64 v[56:57], v[56:57], v[62:63]
	v_mul_f64 v[58:59], v[64:65], s[4:5]
	s_mov_b32 s4, 0x429ad128
	v_mul_f64 v[64:65], v[68:69], s[12:13]
	s_mov_b32 s5, 0xbfebfeb5
	v_mul_f64 v[62:63], v[66:67], s[10:11]
	v_mul_f64 v[68:69], v[70:71], s[4:5]
	s_mov_b32 s12, 0xaaaaaaaa
	s_mov_b32 s13, 0xbff2aaaa
	v_add_f64 v[50:51], v[50:51], v[60:61]
	v_add_f64 v[48:49], v[48:49], v[56:57]
	v_fma_f64 v[60:61], v[66:67], s[10:11], v[58:59]
	v_fma_f64 v[66:67], v[54:55], s[16:17], v[64:65]
	s_mov_b32 s17, 0x3fd5d0dc
	v_fma_f64 v[62:63], v[52:53], s[14:15], -v[62:63]
	s_mov_b32 s15, 0xbfe77f67
	v_fma_f64 v[64:65], v[70:71], s[4:5], -v[64:65]
	v_fma_f64 v[54:55], v[54:55], s[16:17], -v[68:69]
	;; [unrolled: 1-line block ×3, first 2 shown]
	s_mov_b32 s4, 0x37c3f68c
	s_mov_b32 s5, 0xbfdc38aa
	v_fma_f64 v[56:57], v[56:57], s[12:13], v[48:49]
	v_fma_f64 v[58:59], v[50:51], s[4:5], v[66:67]
	;; [unrolled: 1-line block ×4, first 2 shown]
	s_delay_alu instid0(VALU_DEP_4) | instskip(SKIP_2) | instid1(VALU_DEP_3)
	v_add_f64 v[54:55], v[60:61], v[56:57]
	v_add_f64 v[52:53], v[52:53], v[56:57]
	;; [unrolled: 1-line block ×3, first 2 shown]
	v_add_f64 v[60:61], v[54:55], -v[58:59]
	s_delay_alu instid0(VALU_DEP_3) | instskip(NEXT) | instid1(VALU_DEP_3)
	v_add_f64 v[62:63], v[52:53], -v[50:51]
	v_add_f64 v[66:67], v[64:65], v[56:57]
	v_add_f64 v[56:57], v[56:57], -v[64:65]
	v_add_f64 v[50:51], v[50:51], v[52:53]
	v_add_f64 v[52:53], v[58:59], v[54:55]
	v_add_nc_u32_e32 v54, 0x2400, v124
	v_add_nc_u32_e32 v55, 0x2800, v124
	ds_store_2addr_b64 v54, v[48:49], v[60:61] offset0:108 offset1:153
	ds_store_2addr_b64 v55, v[62:63], v[66:67] offset0:70 offset1:115
	ds_store_2addr_b64 v55, v[56:57], v[50:51] offset0:160 offset1:205
	ds_store_b64 v124, v[52:53] offset:12240
.LBB0_35:
	s_or_b32 exec_lo, exec_lo, s1
	s_waitcnt lgkmcnt(0)
	s_barrier
	buffer_gl0_inv
	s_and_saveexec_b32 s0, vcc_lo
	s_cbranch_execz .LBB0_37
; %bb.36:
	v_dual_mov_b32 v137, 0 :: v_dual_lshlrev_b32 v136, 2, v159
	v_lshlrev_b64 v[144:145], 4, v[150:151]
	v_add_nc_u32_e32 v150, 63, v154
	v_mul_lo_u32 v147, s2, v153
	s_delay_alu instid0(VALU_DEP_4)
	v_dual_mov_b32 v196, v137 :: v_dual_add_nc_u32 v153, 0xc00, v155
	v_lshlrev_b64 v[48:49], 4, v[136:137]
	v_dual_mov_b32 v201, v137 :: v_dual_lshlrev_b32 v136, 2, v158
	v_mov_b32_e32 v203, v137
	v_mul_lo_u32 v146, s3, v152
	v_mad_u64_u32 v[142:143], null, s2, v152, 0
	s_delay_alu instid0(VALU_DEP_4) | instskip(SKIP_3) | instid1(VALU_DEP_4)
	v_lshlrev_b64 v[50:51], 4, v[136:137]
	v_add_co_u32 v48, vcc_lo, s8, v48
	v_add_co_ci_u32_e32 v49, vcc_lo, s9, v49, vcc_lo
	v_lshlrev_b32_e32 v136, 2, v157
	v_add_co_u32 v62, vcc_lo, s8, v50
	v_add_co_ci_u32_e32 v63, vcc_lo, s9, v51, vcc_lo
	v_add_co_u32 v68, vcc_lo, 0x1380, v48
	v_add_co_ci_u32_e32 v69, vcc_lo, 0, v49, vcc_lo
	s_delay_alu instid0(VALU_DEP_4) | instskip(NEXT) | instid1(VALU_DEP_4)
	v_add_co_u32 v64, vcc_lo, 0x1380, v62
	v_add_co_ci_u32_e32 v65, vcc_lo, 0, v63, vcc_lo
	v_add_co_u32 v48, vcc_lo, 0x1000, v48
	v_add_co_ci_u32_e32 v49, vcc_lo, 0, v49, vcc_lo
	s_clause 0x2
	global_load_b128 v[56:59], v[68:69], off offset:32
	global_load_b128 v[52:55], v[64:65], off offset:32
	global_load_b128 v[48:51], v[48:49], off offset:896
	v_lshlrev_b64 v[60:61], 4, v[136:137]
	v_add_co_u32 v66, vcc_lo, 0x1000, v62
	v_add_co_ci_u32_e32 v67, vcc_lo, 0, v63, vcc_lo
	v_dual_mov_b32 v205, v137 :: v_dual_lshlrev_b32 v136, 2, v156
	s_delay_alu instid0(VALU_DEP_4) | instskip(SKIP_1) | instid1(VALU_DEP_3)
	v_add_co_u32 v70, vcc_lo, s8, v60
	v_add_co_ci_u32_e32 v71, vcc_lo, s9, v61, vcc_lo
	v_lshlrev_b64 v[78:79], 4, v[136:137]
	s_delay_alu instid0(VALU_DEP_3) | instskip(NEXT) | instid1(VALU_DEP_3)
	v_add_co_u32 v76, vcc_lo, 0x1380, v70
	v_add_co_ci_u32_e32 v77, vcc_lo, 0, v71, vcc_lo
	v_add_co_u32 v80, vcc_lo, 0x1000, v70
	v_add_co_ci_u32_e32 v81, vcc_lo, 0, v71, vcc_lo
	v_add_co_u32 v94, vcc_lo, s8, v78
	s_clause 0x6
	global_load_b128 v[60:63], v[64:65], off offset:16
	global_load_b128 v[96:99], v[66:67], off offset:896
	;; [unrolled: 1-line block ×7, first 2 shown]
	v_add_co_ci_u32_e32 v95, vcc_lo, s9, v79, vcc_lo
	s_clause 0x1
	global_load_b128 v[76:79], v[76:77], off offset:48
	global_load_b128 v[80:83], v[80:81], off offset:896
	v_lshlrev_b32_e32 v136, 2, v154
	v_add_co_u32 v104, vcc_lo, 0x1380, v94
	v_add_co_ci_u32_e32 v105, vcc_lo, 0, v95, vcc_lo
	s_delay_alu instid0(VALU_DEP_3) | instskip(SKIP_3) | instid1(VALU_DEP_4)
	v_lshlrev_b64 v[92:93], 4, v[136:137]
	v_add_co_u32 v100, vcc_lo, 0x1000, v94
	v_add_co_ci_u32_e32 v101, vcc_lo, 0, v95, vcc_lo
	v_add_nc_u32_e32 v136, 0x2000, v155
	v_add_co_u32 v112, vcc_lo, s8, v92
	v_add_co_ci_u32_e32 v113, vcc_lo, s9, v93, vcc_lo
	s_clause 0x3
	global_load_b128 v[92:95], v[104:105], off offset:16
	global_load_b128 v[108:111], v[104:105], off offset:32
	;; [unrolled: 1-line block ×4, first 2 shown]
	v_add_co_u32 v116, vcc_lo, 0x1380, v112
	v_add_co_ci_u32_e32 v117, vcc_lo, 0, v113, vcc_lo
	v_add_co_u32 v112, vcc_lo, 0x1000, v112
	v_add_co_ci_u32_e32 v113, vcc_lo, 0, v113, vcc_lo
	s_clause 0x3
	global_load_b128 v[120:123], v[116:117], off offset:16
	global_load_b128 v[112:115], v[112:113], off offset:896
	;; [unrolled: 1-line block ×4, first 2 shown]
	v_add_nc_u32_e32 v152, 0x1800, v155
	v_add_nc_u32_e32 v156, 0x400, v155
	v_dual_mov_b32 v198, v137 :: v_dual_add_nc_u32 v157, 0x1400, v155
	v_add_nc_u32_e32 v158, 0x2800, v155
	v_dual_mov_b32 v200, v137 :: v_dual_add_nc_u32 v159, 0x800, v155
	v_add_nc_u32_e32 v161, 0x1c00, v155
	v_add_nc_u32_e32 v160, 0x1000, v155
	;; [unrolled: 1-line block ×3, first 2 shown]
	ds_load_b64 v[140:141], v155 offset:12096
	ds_load_2addr_b64 v[128:131], v155 offset0:126 offset1:189
	v_add_nc_u32_e32 v149, 0xbd, v154
	ds_load_2addr_b64 v[132:135], v155 offset1:63
	ds_load_2addr_b64 v[163:166], v136 offset0:110 offset1:173
	ds_load_2addr_b64 v[167:170], v153 offset0:120 offset1:183
	ds_load_2addr_b64 v[171:174], v152 offset0:114 offset1:177
	ds_load_2addr_b64 v[175:178], v156 offset0:124 offset1:187
	ds_load_2addr_b64 v[179:182], v157 offset0:116 offset1:179
	ds_load_2addr_b64 v[155:158], v158 offset0:106 offset1:169
	ds_load_2addr_b64 v[183:186], v159 offset0:122 offset1:185
	ds_load_2addr_b64 v[187:190], v161 offset0:112 offset1:175
	ds_load_2addr_b64 v[191:194], v160 offset0:118 offset1:181
	ds_load_2addr_b64 v[159:162], v162 offset0:108 offset1:171
	v_mul_hi_u32 v136, 0xa01a01a1, v150
	v_add_nc_u32_e32 v148, 0x7e, v154
	v_mul_hi_u32 v195, 0xa01a01a1, v154
	v_mul_hi_u32 v197, 0xa01a01a1, v149
	v_add3_u32 v143, v143, v147, v146
	v_add_nc_u32_e32 v151, 0xfc, v154
	v_mul_hi_u32 v153, 0xa01a01a1, v148
	s_mov_b32 s8, 0x134454ff
	v_sub_nc_u32_e32 v199, v150, v136
	v_lshlrev_b64 v[142:143], 4, v[142:143]
	v_sub_nc_u32_e32 v152, v154, v195
	v_sub_nc_u32_e32 v204, v149, v197
	s_mov_b32 s9, 0x3fee6f0e
	v_lshrrev_b32_e32 v199, 1, v199
	v_sub_nc_u32_e32 v202, v148, v153
	v_lshrrev_b32_e32 v206, 1, v152
	v_lshrrev_b32_e32 v204, 1, v204
	v_add_co_u32 v142, vcc_lo, s6, v142
	v_add_nc_u32_e32 v136, v199, v136
	v_lshrrev_b32_e32 v202, 1, v202
	v_add_nc_u32_e32 v195, v206, v195
	v_add_nc_u32_e32 v147, v204, v197
	v_add_co_ci_u32_e32 v143, vcc_lo, s7, v143, vcc_lo
	v_lshrrev_b32_e32 v136, 8, v136
	v_add_nc_u32_e32 v146, v202, v153
	v_lshrrev_b32_e32 v153, 8, v195
	v_lshrrev_b32_e32 v220, 8, v147
	v_add_co_u32 v142, vcc_lo, v142, v144
	v_mul_u32_u24_e32 v147, 0x13b, v136
	v_lshrrev_b32_e32 v202, 8, v146
	v_mul_u32_u24_e32 v146, 0x13b, v153
	v_mul_u32_u24_e32 v195, 0x13b, v220
	v_add_co_ci_u32_e32 v143, vcc_lo, v143, v145, vcc_lo
	v_sub_nc_u32_e32 v147, v150, v147
	v_mul_u32_u24_e32 v153, 0x13b, v202
	v_sub_nc_u32_e32 v146, v154, v146
	v_sub_nc_u32_e32 v221, v149, v195
	s_mov_b32 s11, 0xbfee6f0e
	v_mad_u32_u24 v136, 0x627, v136, v147
	v_sub_nc_u32_e32 v150, v148, v153
	v_lshlrev_b32_e32 v144, 4, v146
	s_mov_b32 s10, s8
	s_mov_b32 s0, 0x4755a5e
	v_add_nc_u32_e32 v195, 0x13b, v136
	v_add_nc_u32_e32 v197, 0x276, v136
	;; [unrolled: 1-line block ×3, first 2 shown]
	v_lshlrev_b64 v[146:147], 4, v[136:137]
	v_add_nc_u32_e32 v136, 0x4ec, v136
	v_add_co_u32 v144, vcc_lo, v142, v144
	s_delay_alu instid0(VALU_DEP_4) | instskip(SKIP_1) | instid1(VALU_DEP_4)
	v_lshlrev_b64 v[208:209], 4, v[199:200]
	v_add_co_ci_u32_e32 v145, vcc_lo, 0, v143, vcc_lo
	v_lshlrev_b64 v[210:211], 4, v[136:137]
	v_mad_u32_u24 v136, 0x627, v202, v150
	v_add_co_u32 v148, vcc_lo, 0x1000, v144
	s_delay_alu instid0(VALU_DEP_4) | instskip(NEXT) | instid1(VALU_DEP_3)
	v_add_co_ci_u32_e32 v149, vcc_lo, 0, v145, vcc_lo
	v_lshlrev_b64 v[212:213], 4, v[136:137]
	v_add_nc_u32_e32 v200, 0x13b, v136
	v_add_nc_u32_e32 v202, 0x276, v136
	;; [unrolled: 1-line block ×4, first 2 shown]
	v_add_co_u32 v153, vcc_lo, 0x2000, v144
	v_add_co_ci_u32_e32 v154, vcc_lo, 0, v145, vcc_lo
	s_delay_alu instid0(VALU_DEP_3)
	v_lshlrev_b64 v[218:219], 4, v[136:137]
	v_mad_u32_u24 v136, 0x627, v220, v221
	v_add_co_u32 v206, vcc_lo, 0x3000, v144
	v_lshlrev_b64 v[195:196], 4, v[195:196]
	v_add_co_ci_u32_e32 v207, vcc_lo, 0, v145, vcc_lo
	v_lshlrev_b64 v[197:198], 4, v[197:198]
	v_add_co_u32 v146, vcc_lo, v142, v146
	v_add_co_ci_u32_e32 v147, vcc_lo, v143, v147, vcc_lo
	v_add_co_u32 v195, vcc_lo, v142, v195
	v_add_co_ci_u32_e32 v196, vcc_lo, v143, v196, vcc_lo
	;; [unrolled: 2-line block ×4, first 2 shown]
	v_add_co_u32 v210, vcc_lo, v142, v210
	v_lshlrev_b64 v[199:200], 4, v[200:201]
	v_add_co_ci_u32_e32 v211, vcc_lo, v143, v211, vcc_lo
	v_lshlrev_b64 v[201:202], 4, v[202:203]
	v_add_co_u32 v212, vcc_lo, v142, v212
	v_add_co_ci_u32_e32 v213, vcc_lo, v143, v213, vcc_lo
	v_lshlrev_b64 v[203:204], 4, v[204:205]
	v_add_co_u32 v199, vcc_lo, v142, v199
	v_add_co_ci_u32_e32 v200, vcc_lo, v143, v200, vcc_lo
	s_mov_b32 s1, 0xbfe2cf23
	s_mov_b32 s3, 0x3fe2cf23
	;; [unrolled: 1-line block ×5, first 2 shown]
	v_mul_hi_u32 v152, 0xa01a01a1, v151
	s_waitcnt vmcnt(19)
	v_mul_f64 v[214:215], v[46:47], v[58:59]
	s_waitcnt lgkmcnt(9)
	v_mul_f64 v[58:59], v[165:166], v[58:59]
	s_waitcnt vmcnt(18)
	v_mul_f64 v[216:217], v[44:45], v[54:55]
	v_mul_f64 v[54:55], v[163:164], v[54:55]
	s_waitcnt vmcnt(17)
	v_mul_f64 v[220:221], v[42:43], v[50:51]
	s_waitcnt lgkmcnt(8)
	v_mul_f64 v[50:51], v[169:170], v[50:51]
	s_waitcnt vmcnt(15)
	v_mul_f64 v[222:223], v[40:41], v[98:99]
	v_mul_f64 v[98:99], v[167:168], v[98:99]
	s_waitcnt vmcnt(13)
	v_mul_f64 v[224:225], v[138:139], v[90:91]
	;; [unrolled: 3-line block ×3, first 2 shown]
	s_waitcnt lgkmcnt(7)
	v_mul_f64 v[86:87], v[171:172], v[86:87]
	v_mul_f64 v[228:229], v[38:39], v[62:63]
	s_waitcnt lgkmcnt(5)
	v_mul_f64 v[62:63], v[181:182], v[62:63]
	v_mul_f64 v[230:231], v[34:35], v[66:67]
	s_waitcnt lgkmcnt(4)
	v_mul_f64 v[66:67], v[157:158], v[66:67]
	s_waitcnt vmcnt(11)
	v_mul_f64 v[232:233], v[36:37], v[74:75]
	v_mul_f64 v[74:75], v[179:180], v[74:75]
	s_waitcnt vmcnt(9)
	v_mul_f64 v[234:235], v[32:33], v[78:79]
	v_fma_f64 v[165:166], v[56:57], v[165:166], -v[214:215]
	v_fma_f64 v[46:47], v[46:47], v[56:57], v[58:59]
	v_mul_f64 v[56:57], v[155:156], v[78:79]
	v_mul_f64 v[58:59], v[30:31], v[70:71]
	v_fma_f64 v[78:79], v[52:53], v[163:164], -v[216:217]
	s_waitcnt lgkmcnt(2)
	v_mul_f64 v[70:71], v[189:190], v[70:71]
	s_waitcnt vmcnt(8)
	v_mul_f64 v[163:164], v[26:27], v[82:83]
	v_fma_f64 v[44:45], v[44:45], v[52:53], v[54:55]
	v_mul_f64 v[52:53], v[185:186], v[82:83]
	s_waitcnt vmcnt(7)
	v_mul_f64 v[54:55], v[18:19], v[94:95]
	s_waitcnt vmcnt(5)
	v_mul_f64 v[82:83], v[24:25], v[102:103]
	v_fma_f64 v[169:170], v[48:49], v[169:170], -v[220:221]
	v_fma_f64 v[42:43], v[42:43], v[48:49], v[50:51]
	s_waitcnt vmcnt(4)
	v_mul_f64 v[48:49], v[14:15], v[106:107]
	s_waitcnt lgkmcnt(1)
	v_mul_f64 v[50:51], v[193:194], v[94:95]
	v_mul_f64 v[214:215], v[28:29], v[110:111]
	;; [unrolled: 1-line block ×4, first 2 shown]
	s_waitcnt vmcnt(0)
	v_mul_f64 v[216:217], v[12:13], v[118:119]
	v_fma_f64 v[94:95], v[96:97], v[167:168], -v[222:223]
	v_fma_f64 v[40:41], v[40:41], v[96:97], v[98:99]
	s_waitcnt lgkmcnt(0)
	v_mul_f64 v[96:97], v[161:162], v[106:107]
	v_mul_f64 v[98:99], v[16:17], v[122:123]
	;; [unrolled: 1-line block ×4, first 2 shown]
	v_fma_f64 v[140:141], v[88:89], v[140:141], -v[224:225]
	v_fma_f64 v[88:89], v[138:139], v[88:89], v[90:91]
	v_mul_f64 v[90:91], v[191:192], v[122:123]
	v_mul_f64 v[122:123], v[173:174], v[126:127]
	v_fma_f64 v[126:127], v[84:85], v[171:172], -v[226:227]
	v_fma_f64 v[20:21], v[20:21], v[84:85], v[86:87]
	v_mul_f64 v[84:85], v[159:160], v[118:119]
	v_fma_f64 v[86:87], v[60:61], v[181:182], -v[228:229]
	v_fma_f64 v[38:39], v[38:39], v[60:61], v[62:63]
	v_fma_f64 v[60:61], v[64:65], v[157:158], -v[230:231]
	v_fma_f64 v[62:63], v[34:35], v[64:65], v[66:67]
	;; [unrolled: 2-line block ×6, first 2 shown]
	v_mul_f64 v[114:115], v[177:178], v[114:115]
	v_fma_f64 v[52:53], v[92:93], v[193:194], -v[54:55]
	v_fma_f64 v[54:55], v[100:101], v[183:184], -v[82:83]
	;; [unrolled: 1-line block ×3, first 2 shown]
	v_fma_f64 v[18:19], v[18:19], v[92:93], v[50:51]
	v_fma_f64 v[66:67], v[108:109], v[187:188], -v[214:215]
	v_fma_f64 v[28:29], v[28:29], v[108:109], v[110:111]
	v_fma_f64 v[24:25], v[24:25], v[100:101], v[102:103]
	v_add_co_u32 v118, vcc_lo, v142, v201
	v_fma_f64 v[70:71], v[116:117], v[159:160], -v[216:217]
	v_add_co_ci_u32_e32 v119, vcc_lo, v143, v202, vcc_lo
	v_add_co_u32 v138, vcc_lo, v142, v203
	v_fma_f64 v[14:15], v[14:15], v[104:105], v[96:97]
	v_fma_f64 v[50:51], v[120:121], v[191:192], -v[98:99]
	v_fma_f64 v[68:69], v[112:113], v[177:178], -v[106:107]
	;; [unrolled: 1-line block ×3, first 2 shown]
	v_add_f64 v[82:83], v[165:166], -v[140:141]
	v_add_f64 v[96:97], v[140:141], -v[165:166]
	v_fma_f64 v[16:17], v[16:17], v[120:121], v[90:91]
	v_fma_f64 v[22:23], v[22:23], v[124:125], v[122:123]
	v_add_f64 v[80:81], v[126:127], -v[169:170]
	v_add_f64 v[92:93], v[169:170], -v[126:127]
	v_fma_f64 v[12:13], v[12:13], v[116:117], v[84:85]
	v_add_f64 v[120:121], v[86:87], v[78:79]
	v_add_f64 v[124:125], v[38:39], v[44:45]
	;; [unrolled: 1-line block ×5, first 2 shown]
	v_add_co_ci_u32_e32 v139, vcc_lo, v143, v204, vcc_lo
	v_add_f64 v[74:75], v[169:170], v[140:141]
	v_add_f64 v[183:184], v[34:35], v[56:57]
	;; [unrolled: 1-line block ×5, first 2 shown]
	v_fma_f64 v[10:11], v[10:11], v[112:113], v[114:115]
	v_add_f64 v[76:77], v[126:127], v[165:166]
	v_add_f64 v[98:99], v[169:170], v[175:176]
	v_add_f64 v[100:101], v[20:21], -v[42:43]
	v_add_f64 v[102:103], v[46:47], -v[88:89]
	;; [unrolled: 1-line block ×4, first 2 shown]
	v_add_f64 v[108:109], v[8:9], v[42:43]
	v_add_f64 v[114:115], v[169:170], -v[140:141]
	v_add_f64 v[155:156], v[86:87], -v[94:95]
	;; [unrolled: 1-line block ×7, first 2 shown]
	v_add_f64 v[179:180], v[6:7], v[40:41]
	v_add_f64 v[193:194], v[34:35], -v[58:59]
	v_add_f64 v[201:202], v[56:57], -v[64:65]
	v_add_f64 v[203:204], v[58:59], v[128:129]
	v_add_f64 v[216:217], v[4:5], v[26:27]
	;; [unrolled: 1-line block ×4, first 2 shown]
	v_add_f64 v[159:160], v[94:95], -v[86:87]
	v_add_f64 v[161:162], v[60:61], -v[78:79]
	v_add_f64 v[222:223], v[36:37], -v[26:27]
	v_add_f64 v[224:225], v[30:31], -v[32:33]
	v_fma_f64 v[120:121], v[120:121], -0.5, v[130:131]
	v_add_f64 v[226:227], v[26:27], -v[36:37]
	v_fma_f64 v[116:117], v[116:117], -0.5, v[130:131]
	v_fma_f64 v[122:123], v[122:123], -0.5, v[6:7]
	;; [unrolled: 1-line block ×3, first 2 shown]
	v_add_f64 v[228:229], v[32:33], -v[30:31]
	v_add_f64 v[80:81], v[80:81], v[82:83]
	v_add_f64 v[234:235], v[52:53], v[66:67]
	;; [unrolled: 1-line block ×4, first 2 shown]
	v_fma_f64 v[130:131], v[181:182], -0.5, v[128:129]
	v_fma_f64 v[128:129], v[183:184], -0.5, v[128:129]
	v_add_f64 v[183:184], v[68:69], v[70:71]
	v_fma_f64 v[124:125], v[189:190], -0.5, v[4:5]
	v_fma_f64 v[4:5], v[191:192], -0.5, v[4:5]
	v_add_f64 v[189:190], v[50:51], v[72:73]
	v_add_f64 v[191:192], v[16:17], v[22:23]
	v_add_f64 v[82:83], v[10:11], v[12:13]
	v_add_f64 v[238:239], v[18:19], v[28:29]
	v_add_f64 v[214:215], v[58:59], -v[34:35]
	v_add_f64 v[220:221], v[64:65], -v[56:57]
	;; [unrolled: 1-line block ×3, first 2 shown]
	v_add_f64 v[242:243], v[2:3], v[24:25]
	v_add_f64 v[92:93], v[92:93], v[96:97]
	;; [unrolled: 1-line block ×5, first 2 shown]
	v_add_f64 v[110:111], v[20:21], -v[46:47]
	v_add_f64 v[42:43], v[42:43], -v[88:89]
	;; [unrolled: 1-line block ×4, first 2 shown]
	v_fma_f64 v[74:75], v[74:75], -0.5, v[175:176]
	v_fma_f64 v[76:77], v[76:77], -0.5, v[175:176]
	v_add_f64 v[100:101], v[100:101], v[102:103]
	v_add_f64 v[102:103], v[50:51], -v[68:69]
	v_add_f64 v[104:105], v[104:105], v[106:107]
	v_add_f64 v[106:107], v[72:73], -v[70:71]
	v_add_f64 v[98:99], v[126:127], v[98:99]
	v_add_f64 v[126:127], v[68:69], -v[50:51]
	v_add_f64 v[20:21], v[20:21], v[108:109]
	v_add_f64 v[108:109], v[70:71], -v[72:73]
	v_add_f64 v[155:156], v[155:156], v[157:158]
	v_add_f64 v[157:158], v[16:17], -v[10:11]
	v_add_f64 v[167:168], v[167:168], v[169:170]
	v_add_f64 v[169:170], v[10:11], -v[16:17]
	v_add_f64 v[173:174], v[173:174], v[177:178]
	v_add_f64 v[177:178], v[12:13], -v[22:23]
	v_add_f64 v[38:39], v[38:39], v[179:180]
	v_add_f64 v[179:180], v[34:35], -v[56:57]
	v_add_f64 v[193:194], v[193:194], v[201:202]
	v_add_f64 v[201:202], v[18:19], -v[28:29]
	v_add_f64 v[10:11], v[10:11], -v[12:13]
	v_add_f64 v[68:69], v[68:69], -v[70:71]
	v_add_f64 v[34:35], v[34:35], v[203:204]
	v_fma_f64 v[203:204], v[232:233], -0.5, v[134:135]
	v_fma_f64 v[183:184], v[183:184], -0.5, v[132:133]
	;; [unrolled: 1-line block ×5, first 2 shown]
	v_add_f64 v[159:160], v[159:160], v[161:162]
	v_add_f64 v[161:162], v[22:23], -v[12:13]
	v_add_f64 v[222:223], v[222:223], v[224:225]
	v_add_f64 v[224:225], v[16:17], -v[22:23]
	;; [unrolled: 2-line block ×3, first 2 shown]
	v_fma_f64 v[0:1], v[82:83], -0.5, v[0:1]
	v_add_f64 v[240:241], v[54:55], v[134:135]
	v_add_f64 v[250:251], v[18:19], -v[24:25]
	v_add_f64 v[252:253], v[24:25], -v[18:19]
	;; [unrolled: 1-line block ×4, first 2 shown]
	v_fma_f64 v[134:135], v[234:235], -0.5, v[134:135]
	v_fma_f64 v[8:9], v[90:91], -0.5, v[8:9]
	v_add_f64 v[230:231], v[36:37], -v[30:31]
	v_add_f64 v[244:245], v[52:53], -v[54:55]
	;; [unrolled: 1-line block ×4, first 2 shown]
	v_add_f64 v[36:37], v[36:37], v[216:217]
	v_fma_f64 v[216:217], v[236:237], -0.5, v[2:3]
	v_fma_f64 v[2:3], v[238:239], -0.5, v[2:3]
	v_add_f64 v[214:215], v[214:215], v[220:221]
	v_add_f64 v[220:221], v[52:53], -v[66:67]
	v_add_f64 v[40:41], v[40:41], -v[62:63]
	;; [unrolled: 1-line block ×6, first 2 shown]
	v_add_f64 v[18:19], v[18:19], v[242:243]
	v_add_f64 v[50:51], v[50:51], v[96:97]
	;; [unrolled: 1-line block ×8, first 2 shown]
	v_fma_f64 v[20:21], v[110:111], s[8:9], v[74:75]
	v_fma_f64 v[46:47], v[110:111], s[10:11], v[74:75]
	;; [unrolled: 1-line block ×8, first 2 shown]
	v_add_f64 v[108:109], v[157:158], v[161:162]
	v_fma_f64 v[76:77], v[42:43], s[8:9], v[76:77]
	v_fma_f64 v[157:158], v[112:113], s[10:11], v[84:85]
	;; [unrolled: 1-line block ×5, first 2 shown]
	v_add_f64 v[175:176], v[48:49], -v[66:67]
	v_add_f64 v[82:83], v[252:253], v[181:182]
	v_add_f64 v[52:53], v[52:53], v[240:241]
	v_fma_f64 v[181:182], v[24:25], s[10:11], v[134:135]
	v_fma_f64 v[0:1], v[228:229], s[10:11], v[0:1]
	;; [unrolled: 1-line block ×7, first 2 shown]
	v_add_f64 v[90:91], v[28:29], -v[14:15]
	v_fma_f64 v[240:241], v[220:221], s[8:9], v[216:217]
	v_fma_f64 v[216:217], v[220:221], s[10:11], v[216:217]
	v_add_f64 v[34:35], v[56:57], v[34:35]
	v_add_f64 v[30:31], v[36:37], v[30:31]
	v_fma_f64 v[36:37], v[230:231], s[8:9], v[130:131]
	v_fma_f64 v[56:57], v[230:231], s[10:11], v[130:131]
	;; [unrolled: 1-line block ×3, first 2 shown]
	v_add_f64 v[78:79], v[78:79], v[86:87]
	v_add_f64 v[86:87], v[38:39], v[44:45]
	v_fma_f64 v[38:39], v[185:186], s[8:9], v[116:117]
	v_fma_f64 v[44:45], v[185:186], s[10:11], v[116:117]
	;; [unrolled: 1-line block ×6, first 2 shown]
	v_add_f64 v[232:233], v[244:245], v[246:247]
	v_fma_f64 v[242:243], v[26:27], s[8:9], v[128:129]
	v_fma_f64 v[244:245], v[58:59], s[10:11], v[4:5]
	;; [unrolled: 1-line block ×9, first 2 shown]
	v_add_f64 v[18:19], v[18:19], v[28:29]
	v_add_f64 v[28:29], v[72:73], v[50:51]
	;; [unrolled: 1-line block ×3, first 2 shown]
	v_fma_f64 v[246:247], v[110:111], s[0:1], v[74:75]
	v_fma_f64 v[74:75], v[224:225], s[2:3], v[132:133]
	;; [unrolled: 1-line block ×8, first 2 shown]
	v_add_f64 v[175:176], v[248:249], v[175:176]
	v_add_f64 v[52:53], v[66:67], v[52:53]
	v_fma_f64 v[66:67], v[42:43], s[0:1], v[20:21]
	v_fma_f64 v[20:21], v[24:25], s[0:1], v[169:170]
	v_fma_f64 v[22:23], v[24:25], s[2:3], v[177:178]
	v_fma_f64 v[24:25], v[201:202], s[0:1], v[181:182]
	v_fma_f64 v[42:43], v[10:11], s[0:1], v[191:192]
	v_fma_f64 v[68:69], v[68:69], s[2:3], v[0:1]
	v_fma_f64 v[84:85], v[114:115], s[0:1], v[84:85]
	v_fma_f64 v[114:115], v[112:113], s[2:3], v[161:162]
	v_fma_f64 v[50:51], v[224:225], s[0:1], v[203:204]
	v_fma_f64 v[161:162], v[228:229], s[2:3], v[189:190]
	v_fma_f64 v[134:135], v[201:202], s[2:3], v[134:135]
	v_fma_f64 v[169:170], v[220:221], s[0:1], v[238:239]
	v_add_f64 v[90:91], v[250:251], v[90:91]
	v_fma_f64 v[177:178], v[54:55], s[0:1], v[240:241]
	v_fma_f64 v[54:55], v[54:55], s[2:3], v[216:217]
	;; [unrolled: 1-line block ×20, first 2 shown]
	v_add_f64 v[10:11], v[70:71], v[28:29]
	v_add_f64 v[8:9], v[16:17], v[12:13]
	v_fma_f64 v[38:39], v[106:107], s[4:5], v[74:75]
	v_fma_f64 v[36:37], v[126:127], s[4:5], v[132:133]
	v_add_f64 v[0:1], v[30:31], v[32:33]
	v_fma_f64 v[30:31], v[102:103], s[4:5], v[46:47]
	v_fma_f64 v[28:29], v[108:109], s[4:5], v[157:158]
	;; [unrolled: 3-line block ×3, first 2 shown]
	v_fma_f64 v[26:27], v[102:103], s[4:5], v[42:43]
	v_fma_f64 v[24:25], v[108:109], s[4:5], v[68:69]
	v_add_f64 v[2:3], v[64:65], v[34:35]
	v_fma_f64 v[34:35], v[106:107], s[4:5], v[50:51]
	v_fma_f64 v[32:33], v[126:127], s[4:5], v[161:162]
	v_add_f64 v[6:7], v[48:49], v[52:53]
	v_fma_f64 v[42:43], v[175:176], s[4:5], v[134:135]
	v_fma_f64 v[40:41], v[82:83], s[4:5], v[169:170]
	;; [unrolled: 1-line block ×9, first 2 shown]
	v_add_f64 v[54:55], v[60:61], v[78:79]
	v_add_f64 v[52:53], v[86:87], v[62:63]
	v_fma_f64 v[62:63], v[193:194], s[4:5], v[185:186]
	v_fma_f64 v[60:61], v[222:223], s[4:5], v[124:125]
	;; [unrolled: 1-line block ×6, first 2 shown]
	v_add_f64 v[50:51], v[140:141], v[96:97]
	v_add_f64 v[48:49], v[98:99], v[88:89]
	v_fma_f64 v[98:99], v[159:160], s[4:5], v[120:121]
	v_fma_f64 v[96:97], v[173:174], s[4:5], v[187:188]
	v_add_co_u32 v171, vcc_lo, 0x4000, v144
	v_add_co_ci_u32_e32 v172, vcc_lo, 0, v145, vcc_lo
	v_fma_f64 v[90:91], v[155:156], s[4:5], v[201:202]
	v_fma_f64 v[88:89], v[167:168], s[4:5], v[122:123]
	;; [unrolled: 1-line block ×10, first 2 shown]
	s_clause 0xb
	global_store_b128 v[144:145], v[8:11], off
	global_store_b128 v[148:149], v[36:39], off offset:944
	global_store_b128 v[153:154], v[28:31], off offset:1888
	;; [unrolled: 1-line block ×4, first 2 shown]
	global_store_b128 v[146:147], v[4:7], off
	global_store_b128 v[195:196], v[40:43], off
	;; [unrolled: 1-line block ×7, first 2 shown]
	v_sub_nc_u32_e32 v6, v151, v152
	v_add_co_u32 v0, vcc_lo, v142, v218
	v_dual_mov_b32 v5, v137 :: v_dual_add_nc_u32 v4, 0x13b, v136
	v_add_co_ci_u32_e32 v1, vcc_lo, v143, v219, vcc_lo
	v_lshlrev_b64 v[2:3], 4, v[136:137]
	v_lshrrev_b32_e32 v6, 1, v6
	s_clause 0x2
	global_store_b128 v[118:119], v[64:67], off
	global_store_b128 v[138:139], v[60:63], off
	;; [unrolled: 1-line block ×3, first 2 shown]
	v_lshlrev_b64 v[0:1], 4, v[4:5]
	v_dual_mov_b32 v7, v137 :: v_dual_add_nc_u32 v4, 0x276, v136
	v_add_nc_u32_e32 v8, v6, v152
	v_add_co_u32 v2, vcc_lo, v142, v2
	v_add_co_ci_u32_e32 v3, vcc_lo, v143, v3, vcc_lo
	v_add_co_u32 v0, vcc_lo, v142, v0
	v_add_nc_u32_e32 v6, 0x3b1, v136
	v_lshrrev_b32_e32 v8, 8, v8
	v_add_co_ci_u32_e32 v1, vcc_lo, v143, v1, vcc_lo
	v_lshlrev_b64 v[4:5], 4, v[4:5]
	s_clause 0x1
	global_store_b128 v[2:3], v[52:55], off
	global_store_b128 v[0:1], v[96:99], off
	v_lshlrev_b64 v[0:1], 4, v[6:7]
	v_add_nc_u32_e32 v136, 0x4ec, v136
	v_mul_u32_u24_e32 v6, 0x13b, v8
	v_fma_f64 v[80:81], v[104:105], s[4:5], v[112:113]
	v_fma_f64 v[56:57], v[100:101], s[4:5], v[110:111]
	v_add_co_u32 v2, vcc_lo, v142, v4
	v_fma_f64 v[76:77], v[104:105], s[4:5], v[114:115]
	v_add_co_ci_u32_e32 v3, vcc_lo, v143, v5, vcc_lo
	v_lshlrev_b64 v[4:5], 4, v[136:137]
	v_sub_nc_u32_e32 v6, v151, v6
	v_add_co_u32 v0, vcc_lo, v142, v0
	v_add_co_ci_u32_e32 v1, vcc_lo, v143, v1, vcc_lo
	s_delay_alu instid0(VALU_DEP_3) | instskip(SKIP_2) | instid1(VALU_DEP_3)
	v_mad_u32_u24 v136, 0x627, v8, v6
	v_add_co_u32 v4, vcc_lo, v142, v4
	v_add_co_ci_u32_e32 v5, vcc_lo, v143, v5, vcc_lo
	v_add_nc_u32_e32 v6, 0x13b, v136
	s_clause 0x1
	global_store_b128 v[2:3], v[88:91], off
	global_store_b128 v[0:1], v[84:87], off
	v_lshlrev_b64 v[0:1], 4, v[136:137]
	global_store_b128 v[4:5], v[92:95], off
	v_dual_mov_b32 v5, v137 :: v_dual_add_nc_u32 v4, 0x276, v136
	v_lshlrev_b64 v[2:3], 4, v[6:7]
	v_add_nc_u32_e32 v6, 0x3b1, v136
	v_add_co_u32 v0, vcc_lo, v142, v0
	s_delay_alu instid0(VALU_DEP_4)
	v_lshlrev_b64 v[4:5], 4, v[4:5]
	v_add_nc_u32_e32 v136, 0x4ec, v136
	v_add_co_ci_u32_e32 v1, vcc_lo, v143, v1, vcc_lo
	v_add_co_u32 v2, vcc_lo, v142, v2
	v_lshlrev_b64 v[6:7], 4, v[6:7]
	v_add_co_ci_u32_e32 v3, vcc_lo, v143, v3, vcc_lo
	v_add_co_u32 v4, vcc_lo, v142, v4
	v_lshlrev_b64 v[8:9], 4, v[136:137]
	v_add_co_ci_u32_e32 v5, vcc_lo, v143, v5, vcc_lo
	v_add_co_u32 v6, vcc_lo, v142, v6
	v_add_co_ci_u32_e32 v7, vcc_lo, v143, v7, vcc_lo
	s_delay_alu instid0(VALU_DEP_4)
	v_add_co_u32 v8, vcc_lo, v142, v8
	v_add_co_ci_u32_e32 v9, vcc_lo, v143, v9, vcc_lo
	s_clause 0x4
	global_store_b128 v[0:1], v[48:51], off
	global_store_b128 v[2:3], v[80:83], off
	;; [unrolled: 1-line block ×5, first 2 shown]
.LBB0_37:
	s_nop 0
	s_sendmsg sendmsg(MSG_DEALLOC_VGPRS)
	s_endpgm
	.section	.rodata,"a",@progbits
	.p2align	6, 0x0
	.amdhsa_kernel fft_rtc_back_len1575_factors_3_3_5_7_5_wgs_63_tpt_63_halfLds_dp_op_CI_CI_unitstride_sbrr_dirReg
		.amdhsa_group_segment_fixed_size 0
		.amdhsa_private_segment_fixed_size 0
		.amdhsa_kernarg_size 104
		.amdhsa_user_sgpr_count 15
		.amdhsa_user_sgpr_dispatch_ptr 0
		.amdhsa_user_sgpr_queue_ptr 0
		.amdhsa_user_sgpr_kernarg_segment_ptr 1
		.amdhsa_user_sgpr_dispatch_id 0
		.amdhsa_user_sgpr_private_segment_size 0
		.amdhsa_wavefront_size32 1
		.amdhsa_uses_dynamic_stack 0
		.amdhsa_enable_private_segment 0
		.amdhsa_system_sgpr_workgroup_id_x 1
		.amdhsa_system_sgpr_workgroup_id_y 0
		.amdhsa_system_sgpr_workgroup_id_z 0
		.amdhsa_system_sgpr_workgroup_info 0
		.amdhsa_system_vgpr_workitem_id 0
		.amdhsa_next_free_vgpr 254
		.amdhsa_next_free_sgpr 28
		.amdhsa_reserve_vcc 1
		.amdhsa_float_round_mode_32 0
		.amdhsa_float_round_mode_16_64 0
		.amdhsa_float_denorm_mode_32 3
		.amdhsa_float_denorm_mode_16_64 3
		.amdhsa_dx10_clamp 1
		.amdhsa_ieee_mode 1
		.amdhsa_fp16_overflow 0
		.amdhsa_workgroup_processor_mode 1
		.amdhsa_memory_ordered 1
		.amdhsa_forward_progress 0
		.amdhsa_shared_vgpr_count 0
		.amdhsa_exception_fp_ieee_invalid_op 0
		.amdhsa_exception_fp_denorm_src 0
		.amdhsa_exception_fp_ieee_div_zero 0
		.amdhsa_exception_fp_ieee_overflow 0
		.amdhsa_exception_fp_ieee_underflow 0
		.amdhsa_exception_fp_ieee_inexact 0
		.amdhsa_exception_int_div_zero 0
	.end_amdhsa_kernel
	.text
.Lfunc_end0:
	.size	fft_rtc_back_len1575_factors_3_3_5_7_5_wgs_63_tpt_63_halfLds_dp_op_CI_CI_unitstride_sbrr_dirReg, .Lfunc_end0-fft_rtc_back_len1575_factors_3_3_5_7_5_wgs_63_tpt_63_halfLds_dp_op_CI_CI_unitstride_sbrr_dirReg
                                        ; -- End function
	.section	.AMDGPU.csdata,"",@progbits
; Kernel info:
; codeLenInByte = 21068
; NumSgprs: 30
; NumVgprs: 254
; ScratchSize: 0
; MemoryBound: 1
; FloatMode: 240
; IeeeMode: 1
; LDSByteSize: 0 bytes/workgroup (compile time only)
; SGPRBlocks: 3
; VGPRBlocks: 31
; NumSGPRsForWavesPerEU: 30
; NumVGPRsForWavesPerEU: 254
; Occupancy: 5
; WaveLimiterHint : 1
; COMPUTE_PGM_RSRC2:SCRATCH_EN: 0
; COMPUTE_PGM_RSRC2:USER_SGPR: 15
; COMPUTE_PGM_RSRC2:TRAP_HANDLER: 0
; COMPUTE_PGM_RSRC2:TGID_X_EN: 1
; COMPUTE_PGM_RSRC2:TGID_Y_EN: 0
; COMPUTE_PGM_RSRC2:TGID_Z_EN: 0
; COMPUTE_PGM_RSRC2:TIDIG_COMP_CNT: 0
	.text
	.p2alignl 7, 3214868480
	.fill 96, 4, 3214868480
	.type	__hip_cuid_91666005b3c52a91,@object ; @__hip_cuid_91666005b3c52a91
	.section	.bss,"aw",@nobits
	.globl	__hip_cuid_91666005b3c52a91
__hip_cuid_91666005b3c52a91:
	.byte	0                               ; 0x0
	.size	__hip_cuid_91666005b3c52a91, 1

	.ident	"AMD clang version 19.0.0git (https://github.com/RadeonOpenCompute/llvm-project roc-6.4.0 25133 c7fe45cf4b819c5991fe208aaa96edf142730f1d)"
	.section	".note.GNU-stack","",@progbits
	.addrsig
	.addrsig_sym __hip_cuid_91666005b3c52a91
	.amdgpu_metadata
---
amdhsa.kernels:
  - .args:
      - .actual_access:  read_only
        .address_space:  global
        .offset:         0
        .size:           8
        .value_kind:     global_buffer
      - .offset:         8
        .size:           8
        .value_kind:     by_value
      - .actual_access:  read_only
        .address_space:  global
        .offset:         16
        .size:           8
        .value_kind:     global_buffer
      - .actual_access:  read_only
        .address_space:  global
        .offset:         24
        .size:           8
        .value_kind:     global_buffer
      - .actual_access:  read_only
        .address_space:  global
        .offset:         32
        .size:           8
        .value_kind:     global_buffer
      - .offset:         40
        .size:           8
        .value_kind:     by_value
      - .actual_access:  read_only
        .address_space:  global
        .offset:         48
        .size:           8
        .value_kind:     global_buffer
      - .actual_access:  read_only
        .address_space:  global
        .offset:         56
        .size:           8
        .value_kind:     global_buffer
      - .offset:         64
        .size:           4
        .value_kind:     by_value
      - .actual_access:  read_only
        .address_space:  global
        .offset:         72
        .size:           8
        .value_kind:     global_buffer
      - .actual_access:  read_only
        .address_space:  global
        .offset:         80
        .size:           8
        .value_kind:     global_buffer
      - .actual_access:  read_only
        .address_space:  global
        .offset:         88
        .size:           8
        .value_kind:     global_buffer
      - .actual_access:  write_only
        .address_space:  global
        .offset:         96
        .size:           8
        .value_kind:     global_buffer
    .group_segment_fixed_size: 0
    .kernarg_segment_align: 8
    .kernarg_segment_size: 104
    .language:       OpenCL C
    .language_version:
      - 2
      - 0
    .max_flat_workgroup_size: 63
    .name:           fft_rtc_back_len1575_factors_3_3_5_7_5_wgs_63_tpt_63_halfLds_dp_op_CI_CI_unitstride_sbrr_dirReg
    .private_segment_fixed_size: 0
    .sgpr_count:     30
    .sgpr_spill_count: 0
    .symbol:         fft_rtc_back_len1575_factors_3_3_5_7_5_wgs_63_tpt_63_halfLds_dp_op_CI_CI_unitstride_sbrr_dirReg.kd
    .uniform_work_group_size: 1
    .uses_dynamic_stack: false
    .vgpr_count:     254
    .vgpr_spill_count: 0
    .wavefront_size: 32
    .workgroup_processor_mode: 1
amdhsa.target:   amdgcn-amd-amdhsa--gfx1100
amdhsa.version:
  - 1
  - 2
...

	.end_amdgpu_metadata
